;; amdgpu-corpus repo=ROCm/rocFFT kind=compiled arch=gfx1030 opt=O3
	.text
	.amdgcn_target "amdgcn-amd-amdhsa--gfx1030"
	.amdhsa_code_object_version 6
	.protected	fft_rtc_back_len1768_factors_17_13_8_wgs_136_tpt_136_halfLds_dp_ip_CI_unitstride_sbrr_dirReg ; -- Begin function fft_rtc_back_len1768_factors_17_13_8_wgs_136_tpt_136_halfLds_dp_ip_CI_unitstride_sbrr_dirReg
	.globl	fft_rtc_back_len1768_factors_17_13_8_wgs_136_tpt_136_halfLds_dp_ip_CI_unitstride_sbrr_dirReg
	.p2align	8
	.type	fft_rtc_back_len1768_factors_17_13_8_wgs_136_tpt_136_halfLds_dp_ip_CI_unitstride_sbrr_dirReg,@function
fft_rtc_back_len1768_factors_17_13_8_wgs_136_tpt_136_halfLds_dp_ip_CI_unitstride_sbrr_dirReg: ; @fft_rtc_back_len1768_factors_17_13_8_wgs_136_tpt_136_halfLds_dp_ip_CI_unitstride_sbrr_dirReg
; %bb.0:
	s_clause 0x2
	s_load_dwordx4 s[8:11], s[4:5], 0x0
	s_load_dwordx2 s[2:3], s[4:5], 0x50
	s_load_dwordx2 s[12:13], s[4:5], 0x18
	v_mul_u32_u24_e32 v1, 0x1e2, v0
	v_mov_b32_e32 v3, 0
	v_add_nc_u32_sdwa v5, s6, v1 dst_sel:DWORD dst_unused:UNUSED_PAD src0_sel:DWORD src1_sel:WORD_1
	v_mov_b32_e32 v1, 0
	v_mov_b32_e32 v6, v3
	v_mov_b32_e32 v2, 0
	s_waitcnt lgkmcnt(0)
	v_cmp_lt_u64_e64 s0, s[10:11], 2
	s_and_b32 vcc_lo, exec_lo, s0
	s_cbranch_vccnz .LBB0_8
; %bb.1:
	s_load_dwordx2 s[0:1], s[4:5], 0x10
	v_mov_b32_e32 v1, 0
	s_add_u32 s6, s12, 8
	v_mov_b32_e32 v2, 0
	s_addc_u32 s7, s13, 0
	s_mov_b64 s[16:17], 1
	s_waitcnt lgkmcnt(0)
	s_add_u32 s14, s0, 8
	s_addc_u32 s15, s1, 0
.LBB0_2:                                ; =>This Inner Loop Header: Depth=1
	s_load_dwordx2 s[18:19], s[14:15], 0x0
                                        ; implicit-def: $vgpr7_vgpr8
	s_mov_b32 s0, exec_lo
	s_waitcnt lgkmcnt(0)
	v_or_b32_e32 v4, s19, v6
	v_cmpx_ne_u64_e32 0, v[3:4]
	s_xor_b32 s1, exec_lo, s0
	s_cbranch_execz .LBB0_4
; %bb.3:                                ;   in Loop: Header=BB0_2 Depth=1
	v_cvt_f32_u32_e32 v4, s18
	v_cvt_f32_u32_e32 v7, s19
	s_sub_u32 s0, 0, s18
	s_subb_u32 s20, 0, s19
	v_fmac_f32_e32 v4, 0x4f800000, v7
	v_rcp_f32_e32 v4, v4
	v_mul_f32_e32 v4, 0x5f7ffffc, v4
	v_mul_f32_e32 v7, 0x2f800000, v4
	v_trunc_f32_e32 v7, v7
	v_fmac_f32_e32 v4, 0xcf800000, v7
	v_cvt_u32_f32_e32 v7, v7
	v_cvt_u32_f32_e32 v4, v4
	v_mul_lo_u32 v8, s0, v7
	v_mul_hi_u32 v9, s0, v4
	v_mul_lo_u32 v10, s20, v4
	v_add_nc_u32_e32 v8, v9, v8
	v_mul_lo_u32 v9, s0, v4
	v_add_nc_u32_e32 v8, v8, v10
	v_mul_hi_u32 v10, v4, v9
	v_mul_lo_u32 v11, v4, v8
	v_mul_hi_u32 v12, v4, v8
	v_mul_hi_u32 v13, v7, v9
	v_mul_lo_u32 v9, v7, v9
	v_mul_hi_u32 v14, v7, v8
	v_mul_lo_u32 v8, v7, v8
	v_add_co_u32 v10, vcc_lo, v10, v11
	v_add_co_ci_u32_e32 v11, vcc_lo, 0, v12, vcc_lo
	v_add_co_u32 v9, vcc_lo, v10, v9
	v_add_co_ci_u32_e32 v9, vcc_lo, v11, v13, vcc_lo
	v_add_co_ci_u32_e32 v10, vcc_lo, 0, v14, vcc_lo
	v_add_co_u32 v8, vcc_lo, v9, v8
	v_add_co_ci_u32_e32 v9, vcc_lo, 0, v10, vcc_lo
	v_add_co_u32 v4, vcc_lo, v4, v8
	v_add_co_ci_u32_e32 v7, vcc_lo, v7, v9, vcc_lo
	v_mul_hi_u32 v8, s0, v4
	v_mul_lo_u32 v10, s20, v4
	v_mul_lo_u32 v9, s0, v7
	v_add_nc_u32_e32 v8, v8, v9
	v_mul_lo_u32 v9, s0, v4
	v_add_nc_u32_e32 v8, v8, v10
	v_mul_hi_u32 v10, v4, v9
	v_mul_lo_u32 v11, v4, v8
	v_mul_hi_u32 v12, v4, v8
	v_mul_hi_u32 v13, v7, v9
	v_mul_lo_u32 v9, v7, v9
	v_mul_hi_u32 v14, v7, v8
	v_mul_lo_u32 v8, v7, v8
	v_add_co_u32 v10, vcc_lo, v10, v11
	v_add_co_ci_u32_e32 v11, vcc_lo, 0, v12, vcc_lo
	v_add_co_u32 v9, vcc_lo, v10, v9
	v_add_co_ci_u32_e32 v9, vcc_lo, v11, v13, vcc_lo
	v_add_co_ci_u32_e32 v10, vcc_lo, 0, v14, vcc_lo
	v_add_co_u32 v8, vcc_lo, v9, v8
	v_add_co_ci_u32_e32 v9, vcc_lo, 0, v10, vcc_lo
	v_add_co_u32 v4, vcc_lo, v4, v8
	v_add_co_ci_u32_e32 v11, vcc_lo, v7, v9, vcc_lo
	v_mul_hi_u32 v13, v5, v4
	v_mad_u64_u32 v[9:10], null, v6, v4, 0
	v_mad_u64_u32 v[7:8], null, v5, v11, 0
	;; [unrolled: 1-line block ×3, first 2 shown]
	v_add_co_u32 v4, vcc_lo, v13, v7
	v_add_co_ci_u32_e32 v7, vcc_lo, 0, v8, vcc_lo
	v_add_co_u32 v4, vcc_lo, v4, v9
	v_add_co_ci_u32_e32 v4, vcc_lo, v7, v10, vcc_lo
	v_add_co_ci_u32_e32 v7, vcc_lo, 0, v12, vcc_lo
	v_add_co_u32 v4, vcc_lo, v4, v11
	v_add_co_ci_u32_e32 v9, vcc_lo, 0, v7, vcc_lo
	v_mul_lo_u32 v10, s19, v4
	v_mad_u64_u32 v[7:8], null, s18, v4, 0
	v_mul_lo_u32 v11, s18, v9
	v_sub_co_u32 v7, vcc_lo, v5, v7
	v_add3_u32 v8, v8, v11, v10
	v_sub_nc_u32_e32 v10, v6, v8
	v_subrev_co_ci_u32_e64 v10, s0, s19, v10, vcc_lo
	v_add_co_u32 v11, s0, v4, 2
	v_add_co_ci_u32_e64 v12, s0, 0, v9, s0
	v_sub_co_u32 v13, s0, v7, s18
	v_sub_co_ci_u32_e32 v8, vcc_lo, v6, v8, vcc_lo
	v_subrev_co_ci_u32_e64 v10, s0, 0, v10, s0
	v_cmp_le_u32_e32 vcc_lo, s18, v13
	v_cmp_eq_u32_e64 s0, s19, v8
	v_cndmask_b32_e64 v13, 0, -1, vcc_lo
	v_cmp_le_u32_e32 vcc_lo, s19, v10
	v_cndmask_b32_e64 v14, 0, -1, vcc_lo
	v_cmp_le_u32_e32 vcc_lo, s18, v7
	;; [unrolled: 2-line block ×3, first 2 shown]
	v_cndmask_b32_e64 v15, 0, -1, vcc_lo
	v_cmp_eq_u32_e32 vcc_lo, s19, v10
	v_cndmask_b32_e64 v7, v15, v7, s0
	v_cndmask_b32_e32 v10, v14, v13, vcc_lo
	v_add_co_u32 v13, vcc_lo, v4, 1
	v_add_co_ci_u32_e32 v14, vcc_lo, 0, v9, vcc_lo
	v_cmp_ne_u32_e32 vcc_lo, 0, v10
	v_cndmask_b32_e32 v8, v14, v12, vcc_lo
	v_cndmask_b32_e32 v10, v13, v11, vcc_lo
	v_cmp_ne_u32_e32 vcc_lo, 0, v7
	v_cndmask_b32_e32 v8, v9, v8, vcc_lo
	v_cndmask_b32_e32 v7, v4, v10, vcc_lo
.LBB0_4:                                ;   in Loop: Header=BB0_2 Depth=1
	s_andn2_saveexec_b32 s0, s1
	s_cbranch_execz .LBB0_6
; %bb.5:                                ;   in Loop: Header=BB0_2 Depth=1
	v_cvt_f32_u32_e32 v4, s18
	s_sub_i32 s1, 0, s18
	v_rcp_iflag_f32_e32 v4, v4
	v_mul_f32_e32 v4, 0x4f7ffffe, v4
	v_cvt_u32_f32_e32 v4, v4
	v_mul_lo_u32 v7, s1, v4
	v_mul_hi_u32 v7, v4, v7
	v_add_nc_u32_e32 v4, v4, v7
	v_mul_hi_u32 v4, v5, v4
	v_mul_lo_u32 v7, v4, s18
	v_add_nc_u32_e32 v8, 1, v4
	v_sub_nc_u32_e32 v7, v5, v7
	v_subrev_nc_u32_e32 v9, s18, v7
	v_cmp_le_u32_e32 vcc_lo, s18, v7
	v_cndmask_b32_e32 v7, v7, v9, vcc_lo
	v_cndmask_b32_e32 v4, v4, v8, vcc_lo
	v_cmp_le_u32_e32 vcc_lo, s18, v7
	v_add_nc_u32_e32 v8, 1, v4
	v_cndmask_b32_e32 v7, v4, v8, vcc_lo
	v_mov_b32_e32 v8, v3
.LBB0_6:                                ;   in Loop: Header=BB0_2 Depth=1
	s_or_b32 exec_lo, exec_lo, s0
	s_load_dwordx2 s[0:1], s[6:7], 0x0
	v_mul_lo_u32 v4, v8, s18
	v_mul_lo_u32 v11, v7, s19
	v_mad_u64_u32 v[9:10], null, v7, s18, 0
	s_add_u32 s16, s16, 1
	s_addc_u32 s17, s17, 0
	s_add_u32 s6, s6, 8
	s_addc_u32 s7, s7, 0
	;; [unrolled: 2-line block ×3, first 2 shown]
	v_add3_u32 v4, v10, v11, v4
	v_sub_co_u32 v5, vcc_lo, v5, v9
	v_sub_co_ci_u32_e32 v4, vcc_lo, v6, v4, vcc_lo
	s_waitcnt lgkmcnt(0)
	v_mul_lo_u32 v6, s1, v5
	v_mul_lo_u32 v4, s0, v4
	v_mad_u64_u32 v[1:2], null, s0, v5, v[1:2]
	v_cmp_ge_u64_e64 s0, s[16:17], s[10:11]
	s_and_b32 vcc_lo, exec_lo, s0
	v_add3_u32 v2, v6, v2, v4
	s_cbranch_vccnz .LBB0_9
; %bb.7:                                ;   in Loop: Header=BB0_2 Depth=1
	v_mov_b32_e32 v5, v7
	v_mov_b32_e32 v6, v8
	s_branch .LBB0_2
.LBB0_8:
	v_mov_b32_e32 v8, v6
	v_mov_b32_e32 v7, v5
.LBB0_9:
	s_lshl_b64 s[0:1], s[10:11], 3
	v_mul_hi_u32 v3, 0x1e1e1e2, v0
	s_add_u32 s0, s12, s0
	s_addc_u32 s1, s13, s1
                                        ; implicit-def: $vgpr26_vgpr27
                                        ; implicit-def: $vgpr22_vgpr23
                                        ; implicit-def: $vgpr38_vgpr39
                                        ; implicit-def: $vgpr42_vgpr43
                                        ; implicit-def: $vgpr46_vgpr47
                                        ; implicit-def: $vgpr80_vgpr81
                                        ; implicit-def: $vgpr84_vgpr85
                                        ; implicit-def: $vgpr88_vgpr89
                                        ; implicit-def: $vgpr12_vgpr13
                                        ; implicit-def: $vgpr34_vgpr35
                                        ; implicit-def: $vgpr92_vgpr93
                                        ; implicit-def: $vgpr96_vgpr97
                                        ; implicit-def: $vgpr50_vgpr51
                                        ; implicit-def: $vgpr54_vgpr55
                                        ; implicit-def: $vgpr58_vgpr59
                                        ; implicit-def: $vgpr30_vgpr31
                                        ; implicit-def: $vgpr16_vgpr17
	s_load_dwordx2 s[0:1], s[0:1], 0x0
	s_load_dwordx2 s[4:5], s[4:5], 0x20
	v_mul_u32_u24_e32 v3, 0x88, v3
	v_sub_nc_u32_e32 v98, v0, v3
	s_waitcnt lgkmcnt(0)
	v_mul_lo_u32 v4, s0, v8
	v_mul_lo_u32 v5, s1, v7
	v_mad_u64_u32 v[1:2], null, s0, v7, v[1:2]
	v_cmp_gt_u64_e32 vcc_lo, s[4:5], v[7:8]
	v_cmp_gt_u32_e64 s0, 0x68, v98
	s_and_b32 s1, vcc_lo, s0
	v_add3_u32 v2, v5, v2, v4
	v_lshlrev_b64 v[100:101], 4, v[1:2]
	s_and_saveexec_b32 s4, s1
	s_cbranch_execz .LBB0_11
; %bb.10:
	v_mov_b32_e32 v99, 0
	v_add_co_u32 v12, s1, s2, v100
	v_add_co_ci_u32_e64 v13, s1, s3, v101, s1
	v_lshlrev_b64 v[0:1], 4, v[98:99]
	v_add_co_u32 v0, s1, v12, v0
	v_add_co_ci_u32_e64 v1, s1, v13, v1, s1
	v_add_co_u32 v2, s1, 0x800, v0
	v_add_co_ci_u32_e64 v3, s1, 0, v1, s1
	;; [unrolled: 2-line block ×3, first 2 shown]
	s_clause 0x3
	global_load_dwordx4 v[14:17], v[0:1], off
	global_load_dwordx4 v[24:27], v[0:1], off offset:1664
	global_load_dwordx4 v[28:31], v[2:3], off offset:1280
	;; [unrolled: 1-line block ×3, first 2 shown]
	v_add_co_u32 v2, s1, 0x1800, v0
	v_add_co_ci_u32_e64 v3, s1, 0, v1, s1
	v_add_co_u32 v4, s1, 0x2000, v0
	v_add_co_ci_u32_e64 v5, s1, 0, v1, s1
	v_add_co_u32 v6, s1, 0x2800, v0
	v_add_co_ci_u32_e64 v7, s1, 0, v1, s1
	v_add_co_u32 v8, s1, 0x3000, v0
	v_add_co_ci_u32_e64 v9, s1, 0, v1, s1
	v_add_co_u32 v10, s1, 0x3800, v0
	v_add_co_ci_u32_e64 v11, s1, 0, v1, s1
	s_clause 0x5
	global_load_dwordx4 v[36:39], v[2:3], off offset:512
	global_load_dwordx4 v[56:59], v[4:5], off offset:128
	;; [unrolled: 1-line block ×6, first 2 shown]
	v_add_co_u32 v2, s1, 0x4000, v0
	v_add_co_ci_u32_e64 v3, s1, 0, v1, s1
	v_add_co_u32 v4, s1, 0x4800, v0
	v_or_b32_e32 v8, 0x680, v98
	v_mov_b32_e32 v9, v99
	v_add_co_ci_u32_e64 v5, s1, 0, v1, s1
	v_add_co_u32 v6, s1, 0x5000, v0
	v_add_co_ci_u32_e64 v7, s1, 0, v1, s1
	v_add_co_u32 v10, s1, 0x5800, v0
	v_lshlrev_b64 v[8:9], 4, v[8:9]
	v_add_co_ci_u32_e64 v11, s1, 0, v1, s1
	v_add_co_u32 v0, s1, 0x6000, v0
	v_add_co_ci_u32_e64 v1, s1, 0, v1, s1
	v_add_co_u32 v8, s1, v12, v8
	v_add_co_ci_u32_e64 v9, s1, v13, v9, s1
	s_clause 0x6
	global_load_dwordx4 v[94:97], v[2:3], off offset:256
	global_load_dwordx4 v[78:81], v[2:3], off offset:1920
	;; [unrolled: 1-line block ×6, first 2 shown]
	global_load_dwordx4 v[10:13], v[8:9], off
.LBB0_11:
	s_or_b32 exec_lo, exec_lo, s4
	s_waitcnt vmcnt(0)
	v_add_f64 v[72:73], v[26:27], -v[12:13]
	s_mov_b32 s26, 0x2a9d6da3
	s_mov_b32 s22, 0xeb564b22
	;; [unrolled: 1-line block ×6, first 2 shown]
	v_add_f64 v[104:105], v[24:25], v[10:11]
	v_add_f64 v[4:5], v[30:31], -v[34:35]
	s_mov_b32 s4, 0x75d4884
	s_mov_b32 s12, 0x3259b75e
	s_mov_b32 s6, 0x2b2883cd
	s_mov_b32 s46, 0x6c9a05f6
	s_mov_b32 s38, 0xacd6c6b4
	s_mov_b32 s5, 0x3fe7a5f6
	s_mov_b32 s13, 0x3fb79ee6
	s_mov_b32 s7, 0x3fdc86fa
	s_mov_b32 s47, 0xbfe9895b
	s_mov_b32 s39, 0xbfc7851a
	v_add_f64 v[140:141], v[32:33], v[28:29]
	v_add_f64 v[106:107], v[22:23], -v[88:89]
	s_mov_b32 s10, 0x6ed5f1bb
	v_mul_f64 v[110:111], v[72:73], s[26:27]
	v_mul_f64 v[114:115], v[72:73], s[24:25]
	;; [unrolled: 1-line block ×3, first 2 shown]
	s_mov_b32 s14, 0x7faef3
	s_mov_b32 s34, 0x923c349f
	;; [unrolled: 1-line block ×5, first 2 shown]
	v_mul_f64 v[146:147], v[4:5], s[22:23]
	v_mul_f64 v[150:151], v[4:5], s[46:47]
	;; [unrolled: 1-line block ×3, first 2 shown]
	s_mov_b32 s35, 0x3feec746
	s_mov_b32 s50, s38
	v_add_f64 v[124:125], v[20:21], v[86:87]
	v_add_f64 v[76:77], v[38:39], -v[92:93]
	s_mov_b32 s16, 0xc61f0d01
	s_mov_b32 s28, 0x5d8e7cdc
	;; [unrolled: 1-line block ×4, first 2 shown]
	v_add_f64 v[118:119], v[36:37], v[90:91]
	v_mul_f64 v[116:117], v[106:107], s[46:47]
	v_mul_f64 v[128:129], v[106:107], s[50:51]
	v_fma_f64 v[0:1], v[104:105], s[4:5], -v[110:111]
	v_fma_f64 v[2:3], v[104:105], s[6:7], -v[114:115]
	;; [unrolled: 1-line block ×3, first 2 shown]
	v_mul_f64 v[154:155], v[106:107], s[34:35]
	v_add_f64 v[102:103], v[58:59], -v[84:85]
	s_mov_b32 s48, 0x4363dd80
	s_mov_b32 s18, 0x370991
	;; [unrolled: 1-line block ×3, first 2 shown]
	v_fma_f64 v[8:9], v[140:141], s[12:13], -v[146:147]
	v_fma_f64 v[18:19], v[140:141], s[10:11], -v[150:151]
	;; [unrolled: 1-line block ×3, first 2 shown]
	s_mov_b32 s31, 0x3fe58eea
	s_mov_b32 s19, 0x3fedd6d0
	;; [unrolled: 1-line block ×3, first 2 shown]
	v_mul_f64 v[108:109], v[76:77], s[38:39]
	v_mul_f64 v[120:121], v[76:77], s[34:35]
	;; [unrolled: 1-line block ×3, first 2 shown]
	v_add_f64 v[122:123], v[82:83], v[56:57]
	v_add_f64 v[112:113], v[42:43], -v[80:81]
	s_mov_b32 s20, 0x910ea3b9
	v_fma_f64 v[62:63], v[124:125], s[10:11], -v[116:117]
	v_fma_f64 v[64:65], v[124:125], s[14:15], -v[128:129]
	v_add_f64 v[0:1], v[0:1], v[14:15]
	v_add_f64 v[2:3], v[2:3], v[14:15]
	;; [unrolled: 1-line block ×3, first 2 shown]
	v_fma_f64 v[66:67], v[124:125], s[16:17], -v[154:155]
	v_mul_f64 v[126:127], v[102:103], s[48:49]
	v_mul_f64 v[132:133], v[102:103], s[30:31]
	;; [unrolled: 1-line block ×3, first 2 shown]
	s_mov_b32 s21, 0xbfeb34fa
	s_mov_b32 s45, 0xbfd71e95
	;; [unrolled: 1-line block ×5, first 2 shown]
	v_add_f64 v[136:137], v[40:41], v[78:79]
	s_mov_b32 s41, 0x3feca52d
	s_mov_b32 s43, 0x3fe9895b
	;; [unrolled: 1-line block ×3, first 2 shown]
	v_fma_f64 v[68:69], v[118:119], s[18:19], -v[130:131]
	s_mov_b32 s42, s46
	v_mul_f64 v[134:135], v[112:113], s[34:35]
	v_mul_f64 v[142:143], v[112:113], s[44:45]
	;; [unrolled: 1-line block ×3, first 2 shown]
	v_add_f64 v[70:71], v[94:95], v[52:53]
	v_add_f64 v[0:1], v[8:9], v[0:1]
	;; [unrolled: 1-line block ×4, first 2 shown]
	v_fma_f64 v[8:9], v[118:119], s[14:15], -v[108:109]
	v_fma_f64 v[60:61], v[118:119], s[16:17], -v[120:121]
	v_add_f64 v[18:19], v[54:55], -v[96:97]
	v_fma_f64 v[158:159], v[122:123], s[6:7], -v[138:139]
	v_fma_f64 v[160:161], v[136:137], s[16:17], -v[134:135]
	v_fma_f64 v[162:163], v[136:137], s[18:19], -v[142:143]
	v_fma_f64 v[164:165], v[136:137], s[20:21], -v[144:145]
	v_add_f64 v[0:1], v[62:63], v[0:1]
	v_add_f64 v[2:3], v[64:65], v[2:3]
	v_add_f64 v[6:7], v[66:67], v[6:7]
	v_fma_f64 v[62:63], v[122:123], s[20:21], -v[126:127]
	v_fma_f64 v[64:65], v[122:123], s[4:5], -v[132:133]
	v_mul_f64 v[66:67], v[18:19], s[40:41]
	v_mul_f64 v[74:75], v[18:19], s[22:23]
	v_mul_f64 v[156:157], v[18:19], s[42:43]
	v_add_f64 v[0:1], v[8:9], v[0:1]
	v_add_f64 v[2:3], v[60:61], v[2:3]
	v_add_f64 v[6:7], v[68:69], v[6:7]
	v_add_f64 v[8:9], v[50:51], -v[46:47]
	v_add_f64 v[68:69], v[44:45], v[48:49]
	v_fma_f64 v[166:167], v[70:71], s[12:13], -v[74:75]
	v_fma_f64 v[168:169], v[70:71], s[10:11], -v[156:157]
	v_add_f64 v[0:1], v[62:63], v[0:1]
	v_add_f64 v[2:3], v[64:65], v[2:3]
	;; [unrolled: 1-line block ×3, first 2 shown]
	v_mul_f64 v[60:61], v[8:9], s[28:29]
	v_mul_f64 v[62:63], v[8:9], s[36:37]
	;; [unrolled: 1-line block ×3, first 2 shown]
	v_fma_f64 v[158:159], v[70:71], s[6:7], -v[66:67]
	v_add_f64 v[0:1], v[160:161], v[0:1]
	v_add_f64 v[2:3], v[162:163], v[2:3]
	v_add_f64 v[6:7], v[164:165], v[6:7]
	v_fma_f64 v[160:161], v[68:69], s[18:19], -v[60:61]
	v_fma_f64 v[162:163], v[68:69], s[20:21], -v[62:63]
	;; [unrolled: 1-line block ×3, first 2 shown]
	v_add_f64 v[0:1], v[158:159], v[0:1]
	v_add_f64 v[158:159], v[166:167], v[2:3]
	;; [unrolled: 1-line block ×6, first 2 shown]
	s_and_saveexec_b32 s1, s0
	s_cbranch_execz .LBB0_13
; %bb.12:
	v_mul_f64 v[158:159], v[104:105], s[14:15]
	v_mul_f64 v[162:163], v[70:71], s[10:11]
	;; [unrolled: 1-line block ×10, first 2 shown]
	s_mov_b32 s53, 0xbfeec746
	s_mov_b32 s52, s34
	v_mul_f64 v[164:165], v[124:125], s[16:17]
	v_mul_f64 v[166:167], v[140:141], s[14:15]
	;; [unrolled: 1-line block ×4, first 2 shown]
	s_mov_b32 s55, 0x3fefdd0d
	s_mov_b32 s54, s22
	v_fma_f64 v[176:177], v[72:73], s[50:51], v[158:159]
	v_add_f64 v[156:157], v[156:157], v[162:163]
	v_mul_f64 v[162:163], v[140:141], s[12:13]
	v_fma_f64 v[158:159], v[72:73], s[38:39], v[158:159]
	v_fma_f64 v[186:187], v[72:73], s[48:49], v[160:161]
	;; [unrolled: 1-line block ×3, first 2 shown]
	v_add_f64 v[148:149], v[148:149], v[168:169]
	v_add_f64 v[150:151], v[150:151], v[170:171]
	;; [unrolled: 1-line block ×3, first 2 shown]
	v_fma_f64 v[174:175], v[72:73], s[42:43], v[178:179]
	v_add_f64 v[110:111], v[110:111], v[180:181]
	v_add_f64 v[154:155], v[154:155], v[164:165]
	v_mul_f64 v[164:165], v[140:141], s[16:17]
	v_add_f64 v[152:153], v[152:153], v[166:167]
	v_mul_f64 v[166:167], v[140:141], s[20:21]
	v_fma_f64 v[168:169], v[4:5], s[44:45], v[172:173]
	v_fma_f64 v[172:173], v[4:5], s[28:29], v[172:173]
	;; [unrolled: 1-line block ×4, first 2 shown]
	v_mul_f64 v[140:141], v[140:141], s[4:5]
	v_add_f64 v[170:171], v[176:177], v[14:15]
	v_fma_f64 v[176:177], v[72:73], s[46:47], v[178:179]
	v_fma_f64 v[178:179], v[72:73], s[34:35], v[182:183]
	;; [unrolled: 1-line block ×3, first 2 shown]
	v_add_f64 v[146:147], v[146:147], v[162:163]
	v_fma_f64 v[162:163], v[72:73], s[28:29], v[104:105]
	v_fma_f64 v[72:73], v[72:73], s[44:45], v[104:105]
	v_add_f64 v[158:159], v[158:159], v[14:15]
	v_add_f64 v[186:187], v[186:187], v[14:15]
	v_add_f64 v[160:161], v[160:161], v[14:15]
	v_add_f64 v[174:175], v[174:175], v[14:15]
	v_add_f64 v[148:149], v[148:149], v[14:15]
	v_add_f64 v[114:115], v[114:115], v[14:15]
	v_add_f64 v[110:111], v[110:111], v[14:15]
	v_mul_f64 v[104:105], v[124:125], s[20:21]
	v_add_f64 v[168:169], v[168:169], v[170:171]
	v_add_f64 v[176:177], v[176:177], v[14:15]
	;; [unrolled: 1-line block ×4, first 2 shown]
	v_fma_f64 v[170:171], v[4:5], s[52:53], v[164:165]
	v_add_f64 v[162:163], v[162:163], v[14:15]
	v_add_f64 v[72:73], v[72:73], v[14:15]
	;; [unrolled: 1-line block ×3, first 2 shown]
	v_fma_f64 v[164:165], v[4:5], s[34:35], v[164:165]
	v_add_f64 v[158:159], v[172:173], v[158:159]
	v_fma_f64 v[172:173], v[4:5], s[36:37], v[166:167]
	v_add_f64 v[180:181], v[180:181], v[186:187]
	v_mul_f64 v[186:187], v[124:125], s[12:13]
	v_fma_f64 v[166:167], v[4:5], s[48:49], v[166:167]
	v_add_f64 v[160:161], v[184:185], v[160:161]
	v_mul_f64 v[184:185], v[124:125], s[18:19]
	v_add_f64 v[148:149], v[152:153], v[148:149]
	v_mul_f64 v[152:153], v[118:119], s[4:5]
	;; [unrolled: 2-line block ×4, first 2 shown]
	v_add_f64 v[170:171], v[170:171], v[174:175]
	v_fma_f64 v[174:175], v[106:107], s[48:49], v[104:105]
	v_fma_f64 v[104:105], v[106:107], s[36:37], v[104:105]
	v_add_f64 v[14:15], v[28:29], v[14:15]
	v_add_f64 v[164:165], v[164:165], v[176:177]
	v_mul_f64 v[176:177], v[124:125], s[4:5]
	v_add_f64 v[172:173], v[172:173], v[178:179]
	v_fma_f64 v[178:179], v[106:107], s[54:55], v[186:187]
	v_fma_f64 v[186:187], v[106:107], s[22:23], v[186:187]
	v_add_f64 v[166:167], v[166:167], v[182:183]
	v_fma_f64 v[182:183], v[106:107], s[28:29], v[184:185]
	v_fma_f64 v[184:185], v[106:107], s[44:45], v[184:185]
	v_add_f64 v[148:149], v[154:155], v[148:149]
	v_mul_f64 v[154:155], v[136:137], s[6:7]
	v_add_f64 v[134:135], v[134:135], v[150:151]
	v_mul_f64 v[150:151], v[122:123], s[14:15]
	v_add_f64 v[168:169], v[174:175], v[168:169]
	v_add_f64 v[104:105], v[104:105], v[158:159]
	;; [unrolled: 1-line block ×3, first 2 shown]
	v_mul_f64 v[174:175], v[118:119], s[10:11]
	v_fma_f64 v[158:159], v[106:107], s[26:27], v[176:177]
	v_fma_f64 v[176:177], v[106:107], s[30:31], v[176:177]
	v_add_f64 v[178:179], v[178:179], v[180:181]
	v_mul_f64 v[180:181], v[118:119], s[20:21]
	v_add_f64 v[160:161], v[186:187], v[160:161]
	v_mul_f64 v[186:187], v[118:119], s[6:7]
	v_add_f64 v[170:171], v[182:183], v[170:171]
	v_fma_f64 v[182:183], v[76:77], s[26:27], v[152:153]
	v_fma_f64 v[152:153], v[76:77], s[30:31], v[152:153]
	v_add_f64 v[164:165], v[184:185], v[164:165]
	v_add_f64 v[14:15], v[36:37], v[14:15]
	v_fma_f64 v[184:185], v[76:77], s[46:47], v[174:175]
	v_add_f64 v[158:159], v[158:159], v[172:173]
	v_fma_f64 v[174:175], v[76:77], s[42:43], v[174:175]
	;; [unrolled: 2-line block ×3, first 2 shown]
	v_fma_f64 v[180:181], v[76:77], s[36:37], v[180:181]
	v_fma_f64 v[176:177], v[76:77], s[40:41], v[186:187]
	;; [unrolled: 1-line block ×3, first 2 shown]
	v_add_f64 v[168:169], v[182:183], v[168:169]
	v_add_f64 v[104:105], v[152:153], v[104:105]
	v_mul_f64 v[152:153], v[124:125], s[14:15]
	v_mul_f64 v[182:183], v[136:137], s[20:21]
	v_add_f64 v[14:15], v[56:57], v[14:15]
	v_add_f64 v[178:179], v[184:185], v[178:179]
	v_mul_f64 v[184:185], v[122:123], s[6:7]
	v_add_f64 v[160:161], v[174:175], v[160:161]
	v_mul_f64 v[174:175], v[118:119], s[18:19]
	;; [unrolled: 2-line block ×4, first 2 shown]
	v_add_f64 v[158:159], v[176:177], v[158:159]
	v_add_f64 v[166:167], v[186:187], v[166:167]
	v_mul_f64 v[176:177], v[122:123], s[4:5]
	v_fma_f64 v[186:187], v[4:5], s[30:31], v[140:141]
	v_mul_f64 v[124:125], v[124:125], s[6:7]
	v_add_f64 v[128:129], v[128:129], v[152:153]
	v_fma_f64 v[4:5], v[4:5], s[26:27], v[140:141]
	v_mul_f64 v[140:141], v[118:119], s[16:17]
	v_mul_f64 v[152:153], v[122:123], s[20:21]
	v_add_f64 v[144:145], v[144:145], v[182:183]
	v_add_f64 v[14:15], v[40:41], v[14:15]
	;; [unrolled: 1-line block ×3, first 2 shown]
	v_fma_f64 v[184:185], v[102:103], s[50:51], v[150:151]
	v_add_f64 v[130:131], v[130:131], v[174:175]
	v_mul_f64 v[174:175], v[136:137], s[4:5]
	v_fma_f64 v[150:151], v[102:103], s[38:39], v[150:151]
	v_add_f64 v[142:143], v[142:143], v[172:173]
	v_mul_f64 v[172:173], v[118:119], s[14:15]
	v_add_f64 v[116:117], v[116:117], v[180:181]
	v_mul_f64 v[118:119], v[118:119], s[12:13]
	v_add_f64 v[132:133], v[132:133], v[176:177]
	v_add_f64 v[162:163], v[186:187], v[162:163]
	v_fma_f64 v[176:177], v[106:107], s[40:41], v[124:125]
	v_fma_f64 v[106:107], v[106:107], s[24:25], v[124:125]
	v_mul_f64 v[124:125], v[136:137], s[12:13]
	v_mul_f64 v[136:137], v[136:137], s[10:11]
	v_add_f64 v[4:5], v[4:5], v[72:73]
	v_mul_f64 v[72:73], v[122:123], s[10:11]
	v_add_f64 v[120:121], v[120:121], v[140:141]
	;; [unrolled: 2-line block ×3, first 2 shown]
	v_add_f64 v[114:115], v[128:129], v[114:115]
	v_mul_f64 v[128:129], v[122:123], s[12:13]
	v_mul_f64 v[122:123], v[122:123], s[16:17]
	v_add_f64 v[126:127], v[126:127], v[152:153]
	v_fma_f64 v[152:153], v[112:113], s[24:25], v[154:155]
	v_fma_f64 v[154:155], v[112:113], s[40:41], v[154:155]
	v_add_f64 v[150:151], v[150:151], v[166:167]
	v_add_f64 v[108:109], v[108:109], v[172:173]
	;; [unrolled: 1-line block ×3, first 2 shown]
	v_fma_f64 v[172:173], v[112:113], s[50:51], v[146:147]
	v_fma_f64 v[146:147], v[112:113], s[38:39], v[146:147]
	;; [unrolled: 1-line block ×4, first 2 shown]
	v_add_f64 v[162:163], v[176:177], v[162:163]
	v_fma_f64 v[176:177], v[76:77], s[54:55], v[118:119]
	v_fma_f64 v[76:77], v[76:77], s[22:23], v[118:119]
	;; [unrolled: 1-line block ×4, first 2 shown]
	v_add_f64 v[4:5], v[106:107], v[4:5]
	v_fma_f64 v[106:107], v[112:113], s[42:43], v[136:137]
	v_fma_f64 v[112:113], v[112:113], s[46:47], v[136:137]
	v_add_f64 v[14:15], v[48:49], v[14:15]
	v_fma_f64 v[136:137], v[102:103], s[42:43], v[72:73]
	v_fma_f64 v[72:73], v[102:103], s[46:47], v[72:73]
	;; [unrolled: 1-line block ×8, first 2 shown]
	v_mul_f64 v[122:123], v[70:71], s[12:13]
	v_add_f64 v[114:115], v[120:121], v[114:115]
	v_add_f64 v[108:109], v[108:109], v[110:111]
	v_mul_f64 v[120:121], v[70:71], s[4:5]
	v_mul_f64 v[110:111], v[70:71], s[14:15]
	v_add_f64 v[158:159], v[184:185], v[158:159]
	v_mul_f64 v[166:167], v[68:69], s[4:5]
	v_add_f64 v[124:125], v[124:125], v[150:151]
	v_add_f64 v[4:5], v[76:77], v[4:5]
	v_mul_f64 v[76:77], v[70:71], s[6:7]
	v_add_f64 v[14:15], v[44:45], v[14:15]
	v_add_f64 v[136:137], v[136:137], v[168:169]
	;; [unrolled: 1-line block ×3, first 2 shown]
	v_mul_f64 v[168:169], v[68:69], s[12:13]
	v_add_f64 v[140:141], v[140:141], v[160:161]
	v_add_f64 v[170:171], v[182:183], v[170:171]
	;; [unrolled: 1-line block ×3, first 2 shown]
	v_mul_f64 v[160:161], v[68:69], s[18:19]
	v_mul_f64 v[164:165], v[68:69], s[10:11]
	v_add_f64 v[74:75], v[74:75], v[122:123]
	v_add_f64 v[122:123], v[130:131], v[148:149]
	;; [unrolled: 1-line block ×5, first 2 shown]
	v_mul_f64 v[162:163], v[70:71], s[18:19]
	v_mul_f64 v[130:131], v[70:71], s[16:17]
	v_add_f64 v[176:177], v[180:181], v[178:179]
	v_mul_f64 v[70:71], v[70:71], s[20:21]
	v_mul_f64 v[180:181], v[68:69], s[20:21]
	v_add_f64 v[4:5], v[102:103], v[4:5]
	v_add_f64 v[66:67], v[66:67], v[76:77]
	v_mul_f64 v[104:105], v[68:69], s[16:17]
	v_add_f64 v[14:15], v[94:95], v[14:15]
	v_mul_f64 v[178:179], v[68:69], s[6:7]
	v_fma_f64 v[132:133], v[18:19], s[26:27], v[120:121]
	v_fma_f64 v[120:121], v[18:19], s[30:31], v[120:121]
	v_fma_f64 v[126:127], v[18:19], s[50:51], v[110:111]
	v_fma_f64 v[110:111], v[18:19], s[38:39], v[110:111]
	v_add_f64 v[140:141], v[146:147], v[140:141]
	v_add_f64 v[128:129], v[174:175], v[128:129]
	v_mul_f64 v[68:69], v[68:69], s[14:15]
	v_add_f64 v[136:137], v[152:153], v[136:137]
	v_add_f64 v[122:123], v[138:139], v[122:123]
	;; [unrolled: 1-line block ×5, first 2 shown]
	v_fma_f64 v[182:183], v[18:19], s[28:29], v[162:163]
	v_fma_f64 v[162:163], v[18:19], s[44:45], v[162:163]
	;; [unrolled: 1-line block ×4, first 2 shown]
	v_add_f64 v[72:73], v[154:155], v[72:73]
	v_add_f64 v[152:153], v[172:173], v[176:177]
	;; [unrolled: 1-line block ×5, first 2 shown]
	v_fma_f64 v[76:77], v[18:19], s[48:49], v[70:71]
	v_fma_f64 v[18:19], v[18:19], s[36:37], v[70:71]
	v_add_f64 v[4:5], v[112:113], v[4:5]
	v_add_f64 v[62:63], v[62:63], v[180:181]
	;; [unrolled: 1-line block ×3, first 2 shown]
	v_fma_f64 v[134:135], v[8:9], s[46:47], v[164:165]
	v_add_f64 v[64:65], v[64:65], v[166:167]
	v_fma_f64 v[70:71], v[8:9], s[22:23], v[168:169]
	v_fma_f64 v[148:149], v[8:9], s[54:55], v[168:169]
	v_add_f64 v[122:123], v[144:145], v[122:123]
	v_add_f64 v[102:103], v[106:107], v[102:103]
	;; [unrolled: 1-line block ×4, first 2 shown]
	v_fma_f64 v[168:169], v[8:9], s[34:35], v[104:105]
	v_add_f64 v[124:125], v[162:163], v[124:125]
	v_fma_f64 v[104:105], v[8:9], s[52:53], v[104:105]
	v_fma_f64 v[106:107], v[8:9], s[40:41], v[178:179]
	v_add_f64 v[120:121], v[120:121], v[140:141]
	v_add_f64 v[110:111], v[110:111], v[128:129]
	v_fma_f64 v[184:185], v[8:9], s[24:25], v[178:179]
	v_fma_f64 v[112:113], v[8:9], s[42:43], v[164:165]
	v_add_f64 v[14:15], v[82:83], v[14:15]
	v_fma_f64 v[142:143], v[8:9], s[50:51], v[68:69]
	v_fma_f64 v[8:9], v[8:9], s[38:39], v[68:69]
	v_add_f64 v[68:69], v[138:139], v[136:137]
	v_add_f64 v[72:73], v[130:131], v[72:73]
	;; [unrolled: 1-line block ×25, first 2 shown]
	v_mad_u32_u24 v18, 0x88, v98, 0
	ds_write2_b64 v18, v[0:1], v[2:3] offset0:14 offset1:15
	ds_write2_b64 v18, v[60:61], v[62:63] offset0:2 offset1:3
	;; [unrolled: 1-line block ×7, first 2 shown]
	ds_write2_b64 v18, v[8:9], v[4:5] offset1:1
	ds_write_b64 v18, v[14:15] offset:128
.LBB0_13:
	s_or_b32 exec_lo, exec_lo, s1
	v_add_f64 v[148:149], v[24:25], -v[10:11]
	v_add_f64 v[108:109], v[28:29], -v[32:33]
	v_add_f64 v[146:147], v[26:27], v[12:13]
	v_add_f64 v[106:107], v[20:21], -v[86:87]
	v_add_f64 v[110:111], v[34:35], v[30:31]
	v_add_f64 v[104:105], v[22:23], v[88:89]
	v_add_f64 v[102:103], v[36:37], -v[90:91]
	v_add_f64 v[90:91], v[38:39], v[92:93]
	v_add_f64 v[86:87], v[56:57], -v[82:83]
	;; [unrolled: 2-line block ×4, first 2 shown]
	v_lshl_add_u32 v99, v98, 3, 0
	s_waitcnt lgkmcnt(0)
	s_barrier
	buffer_gl0_inv
	v_add_nc_u32_e32 v156, 0x800, v99
	v_add_nc_u32_e32 v159, 0x2000, v99
	v_add_nc_u32_e32 v157, 0x1000, v99
	v_add_nc_u32_e32 v160, 0x2800, v99
	v_mul_f64 v[154:155], v[148:149], s[26:27]
	v_mul_f64 v[152:153], v[148:149], s[24:25]
	;; [unrolled: 1-line block ×20, first 2 shown]
	v_add_nc_u32_e32 v158, 0x1800, v99
	v_fma_f64 v[4:5], v[146:147], s[4:5], v[154:155]
	v_fma_f64 v[8:9], v[146:147], s[6:7], v[152:153]
	;; [unrolled: 1-line block ×11, first 2 shown]
	v_add_f64 v[4:5], v[4:5], v[16:17]
	v_add_f64 v[8:9], v[8:9], v[16:17]
	;; [unrolled: 1-line block ×6, first 2 shown]
	v_fma_f64 v[14:15], v[90:91], s[14:15], v[130:131]
	v_fma_f64 v[18:19], v[90:91], s[16:17], v[128:129]
	;; [unrolled: 1-line block ×3, first 2 shown]
	v_add_f64 v[4:5], v[24:25], v[4:5]
	v_add_f64 v[8:9], v[28:29], v[8:9]
	;; [unrolled: 1-line block ×3, first 2 shown]
	v_fma_f64 v[24:25], v[82:83], s[20:21], v[134:135]
	v_add_f64 v[32:33], v[96:97], v[54:55]
	v_add_f64 v[28:29], v[48:49], -v[44:45]
	v_mul_f64 v[44:45], v[36:37], s[42:43]
	v_add_f64 v[4:5], v[14:15], v[4:5]
	v_add_f64 v[8:9], v[18:19], v[8:9]
	;; [unrolled: 1-line block ×3, first 2 shown]
	v_fma_f64 v[14:15], v[40:41], s[16:17], v[136:137]
	v_fma_f64 v[18:19], v[40:41], s[18:19], v[94:95]
	;; [unrolled: 1-line block ×3, first 2 shown]
	v_mul_f64 v[142:143], v[28:29], s[28:29]
	v_mul_f64 v[144:145], v[28:29], s[36:37]
	;; [unrolled: 1-line block ×3, first 2 shown]
	v_fma_f64 v[64:65], v[32:33], s[10:11], v[44:45]
	v_add_f64 v[4:5], v[24:25], v[4:5]
	v_add_f64 v[8:9], v[60:61], v[8:9]
	;; [unrolled: 1-line block ×4, first 2 shown]
	v_fma_f64 v[60:61], v[32:33], s[6:7], v[140:141]
	v_fma_f64 v[62:63], v[32:33], s[12:13], v[138:139]
	v_add_f64 v[4:5], v[14:15], v[4:5]
	v_add_f64 v[8:9], v[18:19], v[8:9]
	;; [unrolled: 1-line block ×3, first 2 shown]
	v_fma_f64 v[14:15], v[24:25], s[18:19], v[142:143]
	v_fma_f64 v[66:67], v[24:25], s[20:21], v[144:145]
	;; [unrolled: 1-line block ×3, first 2 shown]
	ds_read2_b64 v[18:21], v99 offset1:136
	v_add_f64 v[4:5], v[60:61], v[4:5]
	v_add_f64 v[8:9], v[62:63], v[8:9]
	;; [unrolled: 1-line block ×3, first 2 shown]
	ds_read2_b64 v[76:79], v156 offset0:16 offset1:152
	ds_read2_b64 v[72:75], v157 offset0:32 offset1:168
	;; [unrolled: 1-line block ×3, first 2 shown]
	v_add_f64 v[10:11], v[14:15], v[4:5]
	v_add_f64 v[8:9], v[66:67], v[8:9]
	;; [unrolled: 1-line block ×3, first 2 shown]
	ds_read2_b64 v[64:67], v159 offset0:64 offset1:200
	ds_read2_b64 v[68:71], v160 offset0:80 offset1:216
	ds_read_b64 v[4:5], v99 offset:13056
	s_waitcnt lgkmcnt(0)
	s_barrier
	buffer_gl0_inv
	s_and_saveexec_b32 s33, s0
	s_cbranch_execz .LBB0_15
; %bb.14:
	v_add_f64 v[26:27], v[26:27], v[16:17]
	s_mov_b32 s24, 0x6c9a05f6
	s_mov_b32 s25, 0xbfe9895b
	;; [unrolled: 1-line block ×20, first 2 shown]
	v_mul_f64 v[165:166], v[106:107], s[38:39]
	v_add_f64 v[26:27], v[30:31], v[26:27]
	v_mul_f64 v[30:31], v[146:147], s[12:13]
	s_mov_b32 s42, s24
	v_fma_f64 v[173:174], v[104:105], s[40:41], -v[165:166]
	v_add_f64 v[22:23], v[22:23], v[26:27]
	v_mul_f64 v[26:27], v[146:147], s[6:7]
	v_fma_f64 v[165:166], v[104:105], s[40:41], v[165:166]
	v_add_f64 v[22:23], v[38:39], v[22:23]
	v_add_f64 v[38:39], v[30:31], -v[150:151]
	v_mul_f64 v[30:31], v[148:149], s[34:35]
	v_add_f64 v[26:27], v[26:27], -v[152:153]
	v_add_f64 v[22:23], v[58:59], v[22:23]
	v_add_f64 v[38:39], v[38:39], v[16:17]
	v_fma_f64 v[58:59], v[146:147], s[36:37], v[30:31]
	v_add_f64 v[22:23], v[42:43], v[22:23]
	v_mul_f64 v[42:43], v[148:149], s[24:25]
	v_add_f64 v[22:23], v[54:55], v[22:23]
	v_fma_f64 v[54:55], v[146:147], s[36:37], -v[30:31]
	v_add_f64 v[22:23], v[50:51], v[22:23]
	v_mul_f64 v[50:51], v[148:149], s[28:29]
	v_add_f64 v[22:23], v[46:47], v[22:23]
	v_mul_f64 v[46:47], v[148:149], s[38:39]
	v_fma_f64 v[152:153], v[146:147], s[30:31], -v[50:51]
	v_add_f64 v[22:23], v[96:97], v[22:23]
	v_fma_f64 v[96:97], v[146:147], s[26:27], v[42:43]
	v_fma_f64 v[150:151], v[146:147], s[40:41], v[46:47]
	v_add_f64 v[22:23], v[80:81], v[22:23]
	v_add_f64 v[22:23], v[84:85], v[22:23]
	;; [unrolled: 1-line block ×3, first 2 shown]
	v_fma_f64 v[92:93], v[146:147], s[26:27], -v[42:43]
	v_add_f64 v[22:23], v[88:89], v[22:23]
	v_add_f64 v[88:89], v[34:35], v[22:23]
	v_mul_f64 v[34:35], v[148:149], s[0:1]
	v_mul_f64 v[22:23], v[146:147], s[4:5]
	v_fma_f64 v[148:149], v[146:147], s[40:41], -v[46:47]
	v_add_f64 v[12:13], v[12:13], v[88:89]
	v_fma_f64 v[80:81], v[146:147], s[22:23], -v[34:35]
	v_fma_f64 v[84:85], v[146:147], s[22:23], v[34:35]
	v_fma_f64 v[146:147], v[146:147], s[30:31], v[50:51]
	v_add_f64 v[50:51], v[92:93], v[16:17]
	v_mul_f64 v[92:93], v[110:111], s[10:11]
	v_add_f64 v[22:23], v[22:23], -v[154:155]
	v_mul_f64 v[88:89], v[110:111], s[12:13]
	v_add_f64 v[34:35], v[26:27], v[16:17]
	v_add_f64 v[26:27], v[58:59], v[16:17]
	;; [unrolled: 1-line block ×7, first 2 shown]
	v_add_f64 v[92:93], v[92:93], -v[116:117]
	v_mul_f64 v[116:117], v[104:105], s[14:15]
	v_add_f64 v[30:31], v[22:23], v[16:17]
	v_add_f64 v[22:23], v[54:55], v[16:17]
	;; [unrolled: 1-line block ×3, first 2 shown]
	v_mul_f64 v[96:97], v[104:105], s[10:11]
	v_add_f64 v[88:89], v[88:89], -v[118:119]
	v_mul_f64 v[118:119], v[90:91], s[14:15]
	v_add_f64 v[16:17], v[146:147], v[16:17]
	v_add_f64 v[34:35], v[34:35], v[92:93]
	v_add_f64 v[116:117], v[116:117], -v[122:123]
	v_mul_f64 v[122:123], v[90:91], s[16:17]
	v_mul_f64 v[92:93], v[102:103], s[38:39]
	v_add_f64 v[96:97], v[96:97], -v[124:125]
	v_mul_f64 v[124:125], v[82:83], s[20:21]
	v_add_f64 v[118:119], v[118:119], -v[130:131]
	v_mul_f64 v[130:131], v[40:41], s[16:17]
	v_add_f64 v[30:31], v[30:31], v[88:89]
	v_add_f64 v[34:35], v[116:117], v[34:35]
	v_add_f64 v[122:123], v[122:123], -v[128:129]
	v_mul_f64 v[128:129], v[82:83], s[4:5]
	v_add_f64 v[124:125], v[124:125], -v[134:135]
	v_mul_f64 v[134:135], v[32:33], s[12:13]
	;; [unrolled: 2-line block ×3, first 2 shown]
	s_mov_b32 s13, 0x3fd71e95
	s_mov_b32 s12, s34
	v_add_f64 v[30:31], v[96:97], v[30:31]
	v_mul_f64 v[96:97], v[86:87], s[0:1]
	v_add_f64 v[34:35], v[122:123], v[34:35]
	v_add_f64 v[128:129], v[128:129], -v[132:133]
	v_mul_f64 v[132:133], v[40:41], s[18:19]
	v_add_f64 v[134:135], v[134:135], -v[138:139]
	v_mul_f64 v[138:139], v[24:25], s[20:21]
	v_add_f64 v[136:137], v[136:137], -v[142:143]
	v_add_f64 v[30:31], v[118:119], v[30:31]
	v_add_f64 v[34:35], v[128:129], v[34:35]
	v_add_f64 v[94:95], v[132:133], -v[94:95]
	v_mul_f64 v[132:133], v[32:33], s[6:7]
	v_add_f64 v[138:139], v[138:139], -v[144:145]
	v_add_f64 v[30:31], v[124:125], v[30:31]
	v_add_f64 v[34:35], v[94:95], v[34:35]
	v_add_f64 v[132:133], v[132:133], -v[140:141]
	v_mul_f64 v[140:141], v[110:111], s[14:15]
	s_mov_b32 s14, 0x75d4884
	s_mov_b32 s15, 0x3fe7a5f6
	v_add_f64 v[30:31], v[130:131], v[30:31]
	v_add_f64 v[112:113], v[140:141], -v[112:113]
	v_mul_f64 v[140:141], v[104:105], s[16:17]
	s_mov_b32 s17, 0x3fe58eea
	v_add_f64 v[38:39], v[38:39], v[112:113]
	v_add_f64 v[114:115], v[140:141], -v[114:115]
	v_mul_f64 v[140:141], v[90:91], s[18:19]
	s_mov_b32 s18, 0x2a9d6da3
	s_mov_b32 s19, 0xbfe58eea
	;; [unrolled: 1-line block ×3, first 2 shown]
	v_add_f64 v[38:39], v[114:115], v[38:39]
	v_add_f64 v[120:121], v[140:141], -v[120:121]
	v_mul_f64 v[140:141], v[82:83], s[6:7]
	s_mov_b32 s7, 0x3fe0d888
	s_mov_b32 s6, s38
	v_fma_f64 v[114:115], v[82:83], s[22:23], -v[96:97]
	v_mul_f64 v[144:145], v[108:109], s[6:7]
	s_mov_b32 s6, 0x2b2883cd
	s_mov_b32 s7, 0x3fdc86fa
	v_fma_f64 v[96:97], v[82:83], s[22:23], v[96:97]
	v_add_f64 v[38:39], v[120:121], v[38:39]
	v_add_f64 v[126:127], v[140:141], -v[126:127]
	v_mul_f64 v[140:141], v[40:41], s[20:21]
	s_mov_b32 s21, 0xbfeca52d
	v_fma_f64 v[152:153], v[110:111], s[40:41], -v[144:145]
	v_fma_f64 v[144:145], v[110:111], s[40:41], v[144:145]
	v_add_f64 v[38:39], v[126:127], v[38:39]
	v_add_f64 v[52:53], v[140:141], -v[52:53]
	v_mul_f64 v[140:141], v[32:33], s[10:11]
	s_mov_b32 s11, 0x3feec746
	s_mov_b32 s10, s0
	v_add_f64 v[42:43], v[42:43], v[152:153]
	v_mul_f64 v[146:147], v[108:109], s[10:11]
	s_mov_b32 s10, 0x3259b75e
	s_mov_b32 s11, 0x3fb79ee6
	v_add_f64 v[46:47], v[46:47], v[144:145]
	v_add_f64 v[44:45], v[140:141], -v[44:45]
	v_mul_f64 v[140:141], v[24:25], s[4:5]
	s_mov_b32 s4, 0x7c9e640b
	s_mov_b32 s5, 0x3feca52d
	s_mov_b32 s20, s4
	v_mul_f64 v[142:143], v[108:109], s[4:5]
	v_fma_f64 v[154:155], v[110:111], s[22:23], -v[146:147]
	v_fma_f64 v[146:147], v[110:111], s[22:23], v[146:147]
	v_mul_f64 v[167:168], v[106:107], s[20:21]
	v_add_f64 v[48:49], v[140:141], -v[48:49]
	v_mul_f64 v[140:141], v[108:109], s[18:19]
	v_mul_f64 v[108:109], v[108:109], s[12:13]
	s_mov_b32 s13, 0xbfefdd0d
	s_mov_b32 s12, 0xeb564b22
	v_fma_f64 v[150:151], v[110:111], s[6:7], -v[142:143]
	v_fma_f64 v[142:143], v[110:111], s[6:7], v[142:143]
	v_mul_f64 v[163:164], v[106:107], s[12:13]
	v_fma_f64 v[175:176], v[104:105], s[6:7], -v[167:168]
	v_fma_f64 v[167:168], v[104:105], s[6:7], v[167:168]
	v_add_f64 v[50:51], v[50:51], v[154:155]
	v_add_f64 v[54:55], v[54:55], v[146:147]
	v_mul_f64 v[88:89], v[102:103], s[12:13]
	s_mov_b32 s13, 0x3fefdd0d
	v_fma_f64 v[148:149], v[110:111], s[14:15], -v[140:141]
	v_fma_f64 v[140:141], v[110:111], s[14:15], v[140:141]
	v_fma_f64 v[161:162], v[110:111], s[36:37], -v[108:109]
	v_fma_f64 v[108:109], v[110:111], s[36:37], v[108:109]
	v_mul_f64 v[110:111], v[106:107], s[34:35]
	v_mul_f64 v[106:107], v[106:107], s[16:17]
	v_fma_f64 v[171:172], v[104:105], s[10:11], -v[163:164]
	v_fma_f64 v[163:164], v[104:105], s[10:11], v[163:164]
	v_add_f64 v[58:59], v[58:59], v[150:151]
	v_add_f64 v[80:81], v[80:81], v[142:143]
	v_fma_f64 v[112:113], v[90:91], s[10:11], -v[88:89]
	v_fma_f64 v[88:89], v[90:91], s[10:11], v[88:89]
	v_add_f64 v[22:23], v[22:23], v[148:149]
	v_add_f64 v[26:27], v[26:27], v[140:141]
	;; [unrolled: 1-line block ×4, first 2 shown]
	v_fma_f64 v[169:170], v[104:105], s[36:37], -v[110:111]
	v_fma_f64 v[110:111], v[104:105], s[36:37], v[110:111]
	v_fma_f64 v[177:178], v[104:105], s[14:15], -v[106:107]
	v_fma_f64 v[104:105], v[104:105], s[14:15], v[106:107]
	v_mul_f64 v[106:107], v[102:103], s[20:21]
	v_mul_f64 v[108:109], v[102:103], s[42:43]
	;; [unrolled: 1-line block ×3, first 2 shown]
	v_fma_f64 v[140:141], v[90:91], s[40:41], -v[92:93]
	v_fma_f64 v[92:93], v[90:91], s[40:41], v[92:93]
	v_add_f64 v[58:59], v[171:172], v[58:59]
	v_add_f64 v[80:81], v[163:164], v[80:81]
	;; [unrolled: 1-line block ×10, first 2 shown]
	v_fma_f64 v[142:143], v[90:91], s[6:7], -v[106:107]
	v_fma_f64 v[106:107], v[90:91], s[6:7], v[106:107]
	v_fma_f64 v[144:145], v[90:91], s[26:27], -v[108:109]
	v_fma_f64 v[108:109], v[90:91], s[26:27], v[108:109]
	;; [unrolled: 2-line block ×3, first 2 shown]
	v_mul_f64 v[102:103], v[86:87], s[28:29]
	v_mul_f64 v[104:105], v[86:87], s[34:35]
	;; [unrolled: 1-line block ×4, first 2 shown]
	v_add_f64 v[22:23], v[112:113], v[22:23]
	v_add_f64 v[26:27], v[88:89], v[26:27]
	v_mul_f64 v[88:89], v[56:57], s[18:19]
	v_add_f64 v[50:51], v[140:141], v[50:51]
	v_add_f64 v[54:55], v[92:93], v[54:55]
	v_mul_f64 v[92:93], v[56:57], s[4:5]
	v_add_f64 v[42:43], v[142:143], v[42:43]
	v_add_f64 v[46:47], v[106:107], v[46:47]
	;; [unrolled: 1-line block ×6, first 2 shown]
	v_fma_f64 v[116:117], v[82:83], s[30:31], -v[102:103]
	v_fma_f64 v[102:103], v[82:83], s[30:31], v[102:103]
	v_fma_f64 v[148:149], v[82:83], s[36:37], -v[104:105]
	v_fma_f64 v[104:105], v[82:83], s[36:37], v[104:105]
	;; [unrolled: 2-line block ×4, first 2 shown]
	v_mul_f64 v[86:87], v[56:57], s[24:25]
	v_mul_f64 v[90:91], v[56:57], s[28:29]
	;; [unrolled: 1-line block ×3, first 2 shown]
	v_fma_f64 v[108:109], v[40:41], s[14:15], -v[88:89]
	v_fma_f64 v[88:89], v[40:41], s[14:15], v[88:89]
	v_add_f64 v[26:27], v[96:97], v[26:27]
	v_fma_f64 v[118:119], v[40:41], s[6:7], -v[92:93]
	v_fma_f64 v[92:93], v[40:41], s[6:7], v[92:93]
	v_mul_f64 v[96:97], v[36:37], s[28:29]
	v_add_f64 v[22:23], v[114:115], v[22:23]
	v_add_f64 v[42:43], v[116:117], v[42:43]
	;; [unrolled: 1-line block ×3, first 2 shown]
	v_mul_f64 v[102:103], v[36:37], s[0:1]
	v_add_f64 v[16:17], v[110:111], v[16:17]
	v_add_f64 v[50:51], v[152:153], v[50:51]
	v_add_f64 v[54:55], v[82:83], v[54:55]
	v_fma_f64 v[106:107], v[40:41], s[26:27], -v[86:87]
	v_fma_f64 v[86:87], v[40:41], s[26:27], v[86:87]
	v_fma_f64 v[112:113], v[40:41], s[30:31], -v[90:91]
	v_fma_f64 v[90:91], v[40:41], s[30:31], v[90:91]
	;; [unrolled: 2-line block ×3, first 2 shown]
	v_add_f64 v[56:57], v[148:149], v[58:59]
	v_add_f64 v[58:59], v[104:105], v[80:81]
	v_add_f64 v[80:81], v[150:151], v[84:85]
	v_mul_f64 v[82:83], v[36:37], s[38:39]
	v_mul_f64 v[84:85], v[36:37], s[34:35]
	;; [unrolled: 1-line block ×3, first 2 shown]
	v_fma_f64 v[114:115], v[32:33], s[30:31], -v[96:97]
	v_fma_f64 v[96:97], v[32:33], s[30:31], v[96:97]
	v_fma_f64 v[116:117], v[32:33], s[22:23], -v[102:103]
	v_fma_f64 v[102:103], v[32:33], s[22:23], v[102:103]
	v_add_f64 v[16:17], v[92:93], v[16:17]
	v_add_f64 v[22:23], v[106:107], v[22:23]
	;; [unrolled: 1-line block ×3, first 2 shown]
	v_mul_f64 v[86:87], v[28:29], s[0:1]
	v_add_f64 v[40:41], v[40:41], v[46:47]
	v_add_f64 v[46:47], v[88:89], v[54:55]
	;; [unrolled: 1-line block ×3, first 2 shown]
	v_fma_f64 v[104:105], v[32:33], s[40:41], -v[82:83]
	v_fma_f64 v[82:83], v[32:33], s[40:41], v[82:83]
	v_fma_f64 v[110:111], v[32:33], s[36:37], -v[84:85]
	v_fma_f64 v[84:85], v[32:33], s[36:37], v[84:85]
	v_fma_f64 v[122:123], v[32:33], s[14:15], -v[36:37]
	v_fma_f64 v[32:33], v[32:33], s[14:15], v[36:37]
	v_add_f64 v[36:37], v[52:53], v[38:39]
	v_add_f64 v[38:39], v[120:121], v[42:43]
	;; [unrolled: 1-line block ×5, first 2 shown]
	v_mul_f64 v[56:57], v[28:29], s[28:29]
	v_mul_f64 v[58:59], v[28:29], s[24:25]
	;; [unrolled: 1-line block ×4, first 2 shown]
	v_fma_f64 v[94:95], v[24:25], s[22:23], -v[86:87]
	v_fma_f64 v[86:87], v[24:25], s[22:23], v[86:87]
	v_add_f64 v[16:17], v[102:103], v[16:17]
	v_add_f64 v[22:23], v[104:105], v[22:23]
	;; [unrolled: 1-line block ×5, first 2 shown]
	v_fma_f64 v[88:89], v[24:25], s[30:31], -v[56:57]
	v_fma_f64 v[56:57], v[24:25], s[30:31], v[56:57]
	v_fma_f64 v[90:91], v[24:25], s[26:27], -v[58:59]
	v_fma_f64 v[58:59], v[24:25], s[26:27], v[58:59]
	;; [unrolled: 2-line block ×4, first 2 shown]
	v_add_f64 v[28:29], v[132:133], v[30:31]
	v_add_f64 v[30:31], v[134:135], v[34:35]
	;; [unrolled: 1-line block ×21, first 2 shown]
	v_lshl_add_u32 v40, v98, 7, v99
	ds_write2_b64 v40, v[8:9], v[10:11] offset0:14 offset1:15
	ds_write2_b64 v40, v[28:29], v[30:31] offset0:2 offset1:3
	;; [unrolled: 1-line block ×7, first 2 shown]
	ds_write2_b64 v40, v[12:13], v[22:23] offset1:1
	ds_write_b64 v40, v[26:27] offset:128
.LBB0_15:
	s_or_b32 exec_lo, exec_lo, s33
	v_and_b32_e32 v12, 0xff, v98
	v_mov_b32_e32 v13, 12
	s_waitcnt lgkmcnt(0)
	s_barrier
	buffer_gl0_inv
	v_mul_lo_u16 v12, 0xf1, v12
	s_mov_b32 s6, 0x4267c47c
	s_mov_b32 s4, 0x42a4c3d2
	;; [unrolled: 1-line block ×4, first 2 shown]
	v_lshrrev_b16 v28, 12, v12
	s_mov_b32 s5, 0xbfea55e2
	s_mov_b32 s11, 0xbfefc445
	;; [unrolled: 1-line block ×4, first 2 shown]
	v_mul_lo_u16 v12, v28, 17
	s_mov_b32 s13, 0xbfedeba7
	s_mov_b32 s15, 0xbfe5384d
	;; [unrolled: 1-line block ×4, first 2 shown]
	v_sub_nc_u16 v29, v98, v12
	s_mov_b32 s24, 0xe00740e9
	s_mov_b32 s26, 0x1ea71119
	;; [unrolled: 1-line block ×4, first 2 shown]
	v_mul_u32_u24_sdwa v12, v29, v13 dst_sel:DWORD dst_unused:UNUSED_PAD src0_sel:BYTE_0 src1_sel:DWORD
	s_mov_b32 s27, 0x3fe22d96
	s_mov_b32 s29, 0x3fbedb7d
	;; [unrolled: 1-line block ×4, first 2 shown]
	v_lshlrev_b32_e32 v12, 4, v12
	s_mov_b32 s19, 0x3fe5384d
	s_mov_b32 s21, 0x3fefc445
	;; [unrolled: 1-line block ×4, first 2 shown]
	s_clause 0xb
	global_load_dwordx4 v[30:33], v12, s[8:9]
	global_load_dwordx4 v[34:37], v12, s[8:9] offset:16
	global_load_dwordx4 v[38:41], v12, s[8:9] offset:32
	;; [unrolled: 1-line block ×11, first 2 shown]
	ds_read2_b64 v[24:27], v99 offset1:136
	ds_read2_b64 v[56:59], v156 offset0:16 offset1:152
	ds_read2_b64 v[118:121], v157 offset0:32 offset1:168
	;; [unrolled: 1-line block ×5, first 2 shown]
	ds_read_b64 v[12:13], v99 offset:13056
	s_mov_b32 s18, s14
	s_mov_b32 s20, s10
	;; [unrolled: 1-line block ×12, first 2 shown]
	s_waitcnt vmcnt(0) lgkmcnt(0)
	s_barrier
	buffer_gl0_inv
	v_cmp_gt_u32_e64 s0, 0x55, v98
	v_mul_f64 v[16:17], v[26:27], v[32:33]
	v_mul_f64 v[22:23], v[20:21], v[32:33]
	;; [unrolled: 1-line block ×19, first 2 shown]
	v_fma_f64 v[82:83], v[20:21], v[30:31], v[16:17]
	v_mul_f64 v[16:17], v[4:5], v[44:45]
	v_mul_f64 v[20:21], v[78:79], v[40:41]
	;; [unrolled: 1-line block ×4, first 2 shown]
	v_fma_f64 v[86:87], v[26:27], v[30:31], -v[22:23]
	v_fma_f64 v[80:81], v[76:77], v[34:35], v[32:33]
	v_mul_f64 v[48:49], v[72:73], v[48:49]
	v_fma_f64 v[78:79], v[78:79], v[38:39], v[96:97]
	v_fma_f64 v[84:85], v[56:57], v[34:35], -v[36:37]
	v_fma_f64 v[54:55], v[120:121], v[52:53], -v[54:55]
	v_fma_f64 v[60:61], v[60:61], v[92:93], v[138:139]
	v_fma_f64 v[70:71], v[70:71], v[88:89], v[90:91]
	;; [unrolled: 1-line block ×6, first 2 shown]
	v_add_f64 v[22:23], v[18:19], v[82:83]
	v_fma_f64 v[50:51], v[12:13], v[42:43], -v[16:17]
	v_fma_f64 v[58:59], v[58:59], v[38:39], -v[20:21]
	v_fma_f64 v[76:77], v[72:73], v[46:47], v[40:41]
	v_fma_f64 v[72:73], v[74:75], v[52:53], v[134:135]
	;; [unrolled: 1-line block ×3, first 2 shown]
	v_fma_f64 v[12:13], v[132:133], v[88:89], -v[136:137]
	v_fma_f64 v[42:43], v[130:131], v[106:107], -v[142:143]
	;; [unrolled: 1-line block ×7, first 2 shown]
	v_add_f64 v[30:31], v[80:81], v[70:71]
	v_add_f64 v[32:33], v[78:79], v[68:69]
	;; [unrolled: 1-line block ×4, first 2 shown]
	v_add_f64 v[16:17], v[86:87], -v[50:51]
	v_add_f64 v[34:35], v[76:77], v[66:67]
	v_add_f64 v[38:39], v[72:73], v[64:65]
	;; [unrolled: 1-line block ×3, first 2 shown]
	v_add_f64 v[20:21], v[84:85], -v[12:13]
	v_add_f64 v[26:27], v[58:59], -v[42:43]
	;; [unrolled: 1-line block ×5, first 2 shown]
	v_add_f64 v[4:5], v[4:5], v[78:79]
	v_mul_f64 v[92:93], v[16:17], s[6:7]
	v_mul_f64 v[94:95], v[16:17], s[4:5]
	;; [unrolled: 1-line block ×21, first 2 shown]
	v_add_f64 v[4:5], v[4:5], v[76:77]
	v_fma_f64 v[156:157], v[22:23], s[24:25], v[92:93]
	v_fma_f64 v[158:159], v[22:23], s[26:27], v[94:95]
	v_fma_f64 v[94:95], v[22:23], s[26:27], -v[94:95]
	v_fma_f64 v[160:161], v[22:23], s[28:29], v[96:97]
	v_fma_f64 v[162:163], v[22:23], s[30:31], v[102:103]
	v_fma_f64 v[102:103], v[22:23], s[30:31], -v[102:103]
	;; [unrolled: 3-line block ×3, first 2 shown]
	v_fma_f64 v[104:105], v[22:23], s[36:37], -v[104:105]
	v_fma_f64 v[96:97], v[22:23], s[28:29], -v[96:97]
	;; [unrolled: 1-line block ×3, first 2 shown]
	v_fma_f64 v[22:23], v[30:31], s[26:27], v[106:107]
	v_fma_f64 v[106:107], v[30:31], s[26:27], -v[106:107]
	v_fma_f64 v[168:169], v[30:31], s[30:31], v[108:109]
	v_fma_f64 v[108:109], v[30:31], s[30:31], -v[108:109]
	;; [unrolled: 2-line block ×4, first 2 shown]
	v_fma_f64 v[174:175], v[30:31], s[28:29], v[114:115]
	v_add_f64 v[4:5], v[4:5], v[72:73]
	v_fma_f64 v[114:115], v[30:31], s[28:29], -v[114:115]
	v_fma_f64 v[176:177], v[30:31], s[24:25], v[20:21]
	v_fma_f64 v[20:21], v[30:31], s[24:25], -v[20:21]
	v_fma_f64 v[30:31], v[32:33], s[28:29], v[116:117]
	;; [unrolled: 2-line block ×7, first 2 shown]
	v_fma_f64 v[26:27], v[32:33], s[36:37], -v[26:27]
	v_add_f64 v[32:33], v[18:19], v[156:157]
	v_add_f64 v[156:157], v[18:19], v[158:159]
	;; [unrolled: 1-line block ×13, first 2 shown]
	v_mul_f64 v[132:133], v[36:37], s[10:11]
	v_mul_f64 v[134:135], v[36:37], s[42:43]
	;; [unrolled: 1-line block ×6, first 2 shown]
	v_fma_f64 v[92:93], v[34:35], s[30:31], v[126:127]
	v_fma_f64 v[166:167], v[34:35], s[36:37], v[128:129]
	v_fma_f64 v[128:129], v[34:35], s[36:37], -v[128:129]
	v_add_f64 v[22:23], v[22:23], v[32:33]
	v_add_f64 v[32:33], v[168:169], v[156:157]
	;; [unrolled: 1-line block ×13, first 2 shown]
	v_fma_f64 v[188:189], v[34:35], s[24:25], v[130:131]
	v_mul_f64 v[142:143], v[40:41], s[42:43]
	v_mul_f64 v[144:145], v[40:41], s[22:23]
	v_fma_f64 v[190:191], v[34:35], s[28:29], v[132:133]
	v_fma_f64 v[192:193], v[34:35], s[38:39], v[134:135]
	v_mul_f64 v[40:41], v[40:41], s[12:13]
	v_fma_f64 v[126:127], v[34:35], s[30:31], -v[126:127]
	v_fma_f64 v[130:131], v[34:35], s[24:25], -v[130:131]
	;; [unrolled: 1-line block ×3, first 2 shown]
	v_add_f64 v[22:23], v[30:31], v[22:23]
	v_add_f64 v[30:31], v[178:179], v[32:33]
	;; [unrolled: 1-line block ×5, first 2 shown]
	v_fma_f64 v[104:105], v[34:35], s[38:39], -v[134:135]
	v_add_f64 v[4:5], v[4:5], v[64:65]
	v_add_f64 v[112:113], v[184:185], v[112:113]
	v_fma_f64 v[106:107], v[34:35], s[26:27], v[36:37]
	v_fma_f64 v[34:35], v[34:35], s[26:27], -v[36:37]
	v_add_f64 v[102:103], v[122:123], v[102:103]
	v_add_f64 v[118:119], v[186:187], v[158:159]
	;; [unrolled: 1-line block ×6, first 2 shown]
	v_mul_f64 v[146:147], v[90:91], s[16:17]
	v_mul_f64 v[148:149], v[90:91], s[22:23]
	;; [unrolled: 1-line block ×3, first 2 shown]
	v_fma_f64 v[36:37], v[38:39], s[36:37], v[136:137]
	v_fma_f64 v[110:111], v[38:39], s[36:37], -v[136:137]
	v_fma_f64 v[114:115], v[38:39], s[28:29], v[138:139]
	v_fma_f64 v[134:135], v[38:39], s[28:29], -v[138:139]
	v_fma_f64 v[136:137], v[38:39], s[26:27], v[140:141]
	v_add_f64 v[22:23], v[92:93], v[22:23]
	v_add_f64 v[30:31], v[166:167], v[30:31]
	;; [unrolled: 1-line block ×5, first 2 shown]
	v_mul_f64 v[152:153], v[90:91], s[40:41]
	v_mul_f64 v[154:155], v[90:91], s[12:13]
	;; [unrolled: 1-line block ×3, first 2 shown]
	v_fma_f64 v[96:97], v[38:39], s[38:39], v[142:143]
	v_fma_f64 v[120:121], v[38:39], s[24:25], v[144:145]
	v_add_f64 v[94:95], v[190:191], v[108:109]
	v_add_f64 v[108:109], v[192:193], v[112:113]
	v_fma_f64 v[138:139], v[38:39], s[26:27], -v[140:141]
	v_fma_f64 v[116:117], v[38:39], s[38:39], -v[142:143]
	;; [unrolled: 1-line block ×3, first 2 shown]
	v_fma_f64 v[124:125], v[38:39], s[30:31], v[40:41]
	v_fma_f64 v[38:39], v[38:39], s[30:31], -v[40:41]
	v_add_f64 v[102:103], v[132:133], v[102:103]
	v_add_f64 v[106:107], v[106:107], v[118:119]
	;; [unrolled: 1-line block ×6, first 2 shown]
	v_fma_f64 v[40:41], v[88:89], s[38:39], v[146:147]
	v_fma_f64 v[142:143], v[88:89], s[24:25], v[148:149]
	v_fma_f64 v[34:35], v[88:89], s[24:25], -v[148:149]
	v_add_f64 v[4:5], v[4:5], v[68:69]
	v_fma_f64 v[104:105], v[88:89], s[36:37], v[150:151]
	v_add_f64 v[22:23], v[36:37], v[22:23]
	v_add_f64 v[30:31], v[114:115], v[30:31]
	;; [unrolled: 1-line block ×4, first 2 shown]
	v_fma_f64 v[140:141], v[88:89], s[38:39], -v[146:147]
	v_fma_f64 v[112:113], v[88:89], s[36:37], -v[150:151]
	v_fma_f64 v[118:119], v[88:89], s[26:27], v[152:153]
	v_fma_f64 v[126:127], v[88:89], s[26:27], -v[152:153]
	v_fma_f64 v[128:129], v[88:89], s[30:31], v[154:155]
	;; [unrolled: 2-line block ×3, first 2 shown]
	v_fma_f64 v[88:89], v[88:89], s[28:29], -v[90:91]
	v_add_f64 v[90:91], v[96:97], v[94:95]
	v_add_f64 v[94:95], v[120:121], v[108:109]
	;; [unrolled: 1-line block ×9, first 2 shown]
	v_mov_b32_e32 v106, 0x6e8
	v_add_f64 v[40:41], v[40:41], v[22:23]
	v_add_f64 v[30:31], v[142:143], v[30:31]
	;; [unrolled: 1-line block ×4, first 2 shown]
	v_mul_u32_u24_sdwa v28, v28, v106 dst_sel:DWORD dst_unused:UNUSED_PAD src0_sel:WORD_0 src1_sel:DWORD
	v_add_f64 v[34:35], v[118:119], v[90:91]
	v_add_f64 v[36:37], v[128:129], v[94:95]
	;; [unrolled: 1-line block ×9, first 2 shown]
	v_mov_b32_e32 v38, 3
	v_add_nc_u32_e32 v88, 0xd00, v99
	v_add_nc_u32_e32 v89, 0x1b00, v99
	;; [unrolled: 1-line block ×3, first 2 shown]
	v_lshlrev_b32_sdwa v29, v38, v29 dst_sel:DWORD dst_unused:UNUSED_PAD src0_sel:DWORD src1_sel:BYTE_0
	v_add3_u32 v91, 0, v28, v29
	ds_write2_b64 v91, v[30:31], v[32:33] offset0:34 offset1:51
	ds_write2_b64 v91, v[34:35], v[36:37] offset0:68 offset1:85
	;; [unrolled: 1-line block ×5, first 2 shown]
	ds_write_b64 v91, v[4:5] offset:1632
	ds_write2_b64 v91, v[26:27], v[40:41] offset1:17
	s_waitcnt lgkmcnt(0)
	s_barrier
	buffer_gl0_inv
	ds_read2_b64 v[26:29], v99 offset1:221
	ds_read2_b64 v[34:37], v88 offset0:26 offset1:247
	ds_read2_b64 v[30:33], v89 offset0:20 offset1:241
	;; [unrolled: 1-line block ×3, first 2 shown]
	s_and_saveexec_b32 s1, s0
	s_cbranch_execz .LBB0_17
; %bb.16:
	v_add_nc_u32_e32 v0, 0x400, v99
	v_add_nc_u32_e32 v1, 0x1200, v99
	;; [unrolled: 1-line block ×4, first 2 shown]
	ds_read2_b64 v[16:19], v0 offset0:8 offset1:229
	ds_read2_b64 v[20:23], v1 offset0:2 offset1:223
	;; [unrolled: 1-line block ×4, first 2 shown]
.LBB0_17:
	s_or_b32 exec_lo, exec_lo, s1
	v_add_f64 v[92:93], v[24:25], v[86:87]
	v_add_f64 v[74:75], v[82:83], -v[74:75]
	v_add_f64 v[82:83], v[58:59], v[42:43]
	v_add_f64 v[86:87], v[86:87], v[50:51]
	v_add_f64 v[68:69], v[78:79], -v[68:69]
	v_add_f64 v[78:79], v[56:57], v[44:45]
	v_add_f64 v[70:71], v[80:81], -v[70:71]
	v_add_f64 v[60:61], v[60:61], -v[62:63]
	;; [unrolled: 1-line block ×3, first 2 shown]
	v_add_f64 v[76:77], v[54:55], v[46:47]
	v_add_f64 v[64:65], v[72:73], -v[64:65]
	v_add_f64 v[72:73], v[52:53], v[48:49]
	s_waitcnt lgkmcnt(0)
	s_barrier
	buffer_gl0_inv
	v_add_f64 v[92:93], v[92:93], v[84:85]
	v_add_f64 v[84:85], v[84:85], v[12:13]
	v_mul_f64 v[112:113], v[82:83], s[28:29]
	v_mul_f64 v[62:63], v[86:87], s[24:25]
	;; [unrolled: 1-line block ×20, first 2 shown]
	v_add_f64 v[58:59], v[92:93], v[58:59]
	v_mul_f64 v[92:93], v[86:87], s[28:29]
	v_mul_f64 v[86:87], v[86:87], s[38:39]
	;; [unrolled: 1-line block ×8, first 2 shown]
	v_fma_f64 v[150:151], v[74:75], s[22:23], v[62:63]
	v_fma_f64 v[152:153], v[74:75], s[40:41], v[80:81]
	;; [unrolled: 1-line block ×13, first 2 shown]
	v_add_f64 v[56:57], v[58:59], v[56:57]
	v_fma_f64 v[154:155], v[74:75], s[20:21], v[92:93]
	v_fma_f64 v[92:93], v[74:75], s[10:11], v[92:93]
	;; [unrolled: 1-line block ×12, first 2 shown]
	v_add_f64 v[80:81], v[24:25], v[80:81]
	v_add_f64 v[96:97], v[24:25], v[96:97]
	v_mul_f64 v[58:59], v[78:79], s[28:29]
	v_mul_f64 v[78:79], v[78:79], s[26:27]
	;; [unrolled: 1-line block ×7, first 2 shown]
	v_add_f64 v[54:55], v[56:57], v[54:55]
	v_fma_f64 v[56:57], v[74:75], s[34:35], v[94:95]
	v_fma_f64 v[94:95], v[74:75], s[12:13], v[94:95]
	;; [unrolled: 1-line block ×8, first 2 shown]
	v_add_f64 v[92:93], v[24:25], v[92:93]
	v_mul_f64 v[72:73], v[72:73], s[28:29]
	v_add_f64 v[80:81], v[104:105], v[80:81]
	v_fma_f64 v[178:179], v[66:67], s[20:21], v[58:59]
	v_fma_f64 v[58:59], v[66:67], s[10:11], v[58:59]
	v_add_f64 v[52:53], v[54:55], v[52:53]
	v_fma_f64 v[54:55], v[68:69], s[16:17], v[114:115]
	v_fma_f64 v[114:115], v[68:69], s[12:13], v[116:117]
	;; [unrolled: 1-line block ×4, first 2 shown]
	v_add_f64 v[82:83], v[24:25], v[150:151]
	v_add_f64 v[150:151], v[24:25], v[152:153]
	;; [unrolled: 1-line block ×10, first 2 shown]
	v_fma_f64 v[62:63], v[66:67], s[12:13], v[122:123]
	v_fma_f64 v[158:159], v[66:67], s[6:7], v[126:127]
	;; [unrolled: 1-line block ×4, first 2 shown]
	v_add_f64 v[48:49], v[52:53], v[48:49]
	v_fma_f64 v[52:53], v[66:67], s[34:35], v[122:123]
	v_fma_f64 v[122:123], v[66:67], s[14:15], v[124:125]
	;; [unrolled: 1-line block ×3, first 2 shown]
	v_add_f64 v[54:55], v[54:55], v[80:81]
	v_add_f64 v[82:83], v[86:87], v[82:83]
	v_add_f64 v[86:87], v[160:161], v[150:151]
	v_add_f64 v[104:105], v[162:163], v[152:153]
	v_add_f64 v[56:57], v[164:165], v[56:57]
	v_add_f64 v[94:95], v[108:109], v[94:95]
	v_add_f64 v[108:109], v[166:167], v[154:155]
	v_add_f64 v[150:151], v[168:169], v[156:157]
	v_add_f64 v[70:71], v[70:71], v[74:75]
	v_add_f64 v[74:75], v[110:111], v[96:97]
	v_add_f64 v[24:25], v[102:103], v[24:25]
	v_fma_f64 v[96:97], v[66:67], s[4:5], v[78:79]
	v_fma_f64 v[110:111], v[64:65], s[20:21], v[132:133]
	;; [unrolled: 1-line block ×3, first 2 shown]
	v_add_f64 v[46:47], v[48:49], v[46:47]
	v_fma_f64 v[48:49], v[66:67], s[42:43], v[128:129]
	v_fma_f64 v[66:67], v[66:67], s[40:41], v[78:79]
	;; [unrolled: 1-line block ×4, first 2 shown]
	v_add_f64 v[82:83], v[84:85], v[82:83]
	v_add_f64 v[84:85], v[170:171], v[86:87]
	;; [unrolled: 1-line block ×12, first 2 shown]
	v_fma_f64 v[92:93], v[64:65], s[42:43], v[136:137]
	v_fma_f64 v[108:109], v[64:65], s[6:7], v[138:139]
	;; [unrolled: 1-line block ×5, first 2 shown]
	v_add_f64 v[44:45], v[46:47], v[44:45]
	v_fma_f64 v[46:47], v[64:65], s[16:17], v[136:137]
	v_fma_f64 v[64:65], v[64:65], s[12:13], v[76:77]
	v_fma_f64 v[76:77], v[60:61], s[42:43], v[140:141]
	v_fma_f64 v[116:117], v[60:61], s[16:17], v[140:141]
	v_add_f64 v[52:53], v[52:53], v[82:83]
	v_add_f64 v[82:83], v[122:123], v[84:85]
	;; [unrolled: 1-line block ×11, first 2 shown]
	v_fma_f64 v[118:119], v[60:61], s[6:7], v[142:143]
	v_fma_f64 v[62:63], v[60:61], s[18:19], v[144:145]
	;; [unrolled: 1-line block ×6, first 2 shown]
	v_add_f64 v[42:43], v[44:45], v[42:43]
	v_fma_f64 v[44:45], v[60:61], s[22:23], v[142:143]
	v_fma_f64 v[104:105], v[60:61], s[12:13], v[148:149]
	;; [unrolled: 1-line block ×4, first 2 shown]
	v_add_f64 v[52:53], v[78:79], v[52:53]
	v_add_f64 v[72:73], v[106:107], v[82:83]
	;; [unrolled: 1-line block ×26, first 2 shown]
	ds_write2_b64 v91, v[72:73], v[54:55] offset0:34 offset1:51
	ds_write2_b64 v91, v[62:63], v[56:57] offset0:68 offset1:85
	;; [unrolled: 1-line block ×5, first 2 shown]
	ds_write_b64 v91, v[12:13] offset:1632
	ds_write2_b64 v91, v[24:25], v[52:53] offset1:17
	s_waitcnt lgkmcnt(0)
	s_barrier
	buffer_gl0_inv
	ds_read2_b64 v[50:53], v99 offset1:221
	ds_read2_b64 v[54:57], v88 offset0:26 offset1:247
	ds_read2_b64 v[62:65], v89 offset0:20 offset1:241
	ds_read2_b64 v[58:61], v90 offset0:14 offset1:235
	s_and_saveexec_b32 s1, s0
	s_cbranch_execz .LBB0_19
; %bb.18:
	v_add_nc_u32_e32 v8, 0x400, v99
	v_add_nc_u32_e32 v9, 0x1200, v99
	;; [unrolled: 1-line block ×4, first 2 shown]
	ds_read2_b64 v[42:45], v8 offset0:8 offset1:229
	ds_read2_b64 v[46:49], v9 offset0:2 offset1:223
	;; [unrolled: 1-line block ×4, first 2 shown]
.LBB0_19:
	s_or_b32 exec_lo, exec_lo, s1
	s_and_saveexec_b32 s1, vcc_lo
	s_cbranch_execz .LBB0_22
; %bb.20:
	v_mul_u32_u24_e32 v24, 7, v98
	s_mov_b32 s4, 0x667f3bcd
	s_mov_b32 s5, 0x3fe6a09e
	;; [unrolled: 1-line block ×4, first 2 shown]
	v_lshlrev_b32_e32 v24, 4, v24
	v_mov_b32_e32 v99, 0
	v_add_co_u32 v66, s1, s8, v24
	v_add_co_ci_u32_e64 v67, null, s9, 0, s1
	v_add_co_u32 v24, vcc_lo, 0xcc0, v66
	v_add_co_ci_u32_e32 v25, vcc_lo, 0, v67, vcc_lo
	v_add_co_u32 v90, vcc_lo, 0xd00, v66
	v_add_co_ci_u32_e32 v91, vcc_lo, 0, v67, vcc_lo
	;; [unrolled: 2-line block ×3, first 2 shown]
	s_clause 0x6
	global_load_dwordx4 v[66:69], v[24:25], off offset:48
	global_load_dwordx4 v[70:73], v[24:25], off offset:16
	;; [unrolled: 1-line block ×7, first 2 shown]
	s_waitcnt vmcnt(6)
	v_mul_f64 v[24:25], v[30:31], v[68:69]
	s_waitcnt vmcnt(5)
	v_mul_f64 v[94:95], v[34:35], v[70:71]
	;; [unrolled: 2-line block ×7, first 2 shown]
	s_waitcnt lgkmcnt(3)
	v_mul_f64 v[80:81], v[52:53], v[80:81]
	s_waitcnt lgkmcnt(1)
	v_mul_f64 v[84:85], v[64:65], v[84:85]
	v_mul_f64 v[36:37], v[36:37], v[88:89]
	;; [unrolled: 1-line block ×6, first 2 shown]
	v_fma_f64 v[24:25], v[62:63], v[66:67], -v[24:25]
	v_fma_f64 v[62:63], v[54:55], v[72:73], v[94:95]
	s_waitcnt lgkmcnt(0)
	v_fma_f64 v[72:73], v[58:59], v[76:77], v[96:97]
	v_fma_f64 v[52:53], v[52:53], v[78:79], -v[102:103]
	v_fma_f64 v[64:65], v[64:65], v[82:83], -v[104:105]
	v_fma_f64 v[76:77], v[56:57], v[88:89], v[106:107]
	v_fma_f64 v[88:89], v[60:61], v[92:93], v[108:109]
	;; [unrolled: 1-line block ×4, first 2 shown]
	v_fma_f64 v[36:37], v[56:57], v[86:87], -v[36:37]
	v_fma_f64 v[40:41], v[60:61], v[90:91], -v[40:41]
	;; [unrolled: 1-line block ×4, first 2 shown]
	v_fma_f64 v[30:31], v[30:31], v[66:67], v[68:69]
	v_add_co_u32 v78, vcc_lo, s2, v100
	v_add_co_ci_u32_e32 v79, vcc_lo, s3, v101, vcc_lo
	v_add_f64 v[24:25], v[50:51], -v[24:25]
	v_add_f64 v[54:55], v[62:63], -v[72:73]
	;; [unrolled: 1-line block ×8, first 2 shown]
	v_fma_f64 v[50:51], v[50:51], 2.0, -v[24:25]
	v_add_f64 v[60:61], v[24:25], -v[54:55]
	v_add_f64 v[64:65], v[56:57], -v[58:59]
	v_fma_f64 v[28:29], v[28:29], 2.0, -v[32:33]
	v_add_f64 v[66:67], v[32:33], v[40:41]
	v_fma_f64 v[36:37], v[36:37], 2.0, -v[40:41]
	v_fma_f64 v[34:35], v[34:35], 2.0, -v[38:39]
	v_add_f64 v[68:69], v[30:31], v[38:39]
	v_fma_f64 v[26:27], v[26:27], 2.0, -v[30:31]
	v_fma_f64 v[38:39], v[52:53], 2.0, -v[56:57]
	v_fma_f64 v[40:41], v[62:63], 2.0, -v[54:55]
	v_fma_f64 v[52:53], v[76:77], 2.0, -v[58:59]
	v_fma_f64 v[62:63], v[24:25], 2.0, -v[60:61]
	v_fma_f64 v[24:25], v[56:57], 2.0, -v[64:65]
	v_fma_f64 v[54:55], v[32:33], 2.0, -v[66:67]
	v_add_f64 v[58:59], v[50:51], -v[34:35]
	v_fma_f64 v[70:71], v[30:31], 2.0, -v[68:69]
	v_fma_f64 v[30:31], v[64:65], s[4:5], v[60:61]
	v_add_f64 v[34:35], v[38:39], -v[36:37]
	v_add_f64 v[72:73], v[26:27], -v[40:41]
	v_add_f64 v[36:37], v[28:29], -v[52:53]
	v_fma_f64 v[40:41], v[66:67], s[4:5], v[68:69]
	v_fma_f64 v[52:53], v[24:25], s[6:7], v[62:63]
	v_fma_f64 v[74:75], v[50:51], 2.0, -v[58:59]
	v_fma_f64 v[56:57], v[54:55], s[6:7], v[70:71]
	v_fma_f64 v[32:33], v[66:67], s[6:7], v[30:31]
	v_fma_f64 v[50:51], v[38:39], 2.0, -v[34:35]
	v_fma_f64 v[76:77], v[26:27], 2.0, -v[72:73]
	v_fma_f64 v[26:27], v[28:29], 2.0, -v[36:37]
	v_add_f64 v[36:37], v[58:59], -v[36:37]
	v_add_f64 v[34:35], v[72:73], v[34:35]
	v_fma_f64 v[30:31], v[64:65], s[4:5], v[40:41]
	v_lshlrev_b64 v[28:29], 4, v[98:99]
	v_fma_f64 v[40:41], v[54:55], s[6:7], v[52:53]
	v_fma_f64 v[38:39], v[24:25], s[4:5], v[56:57]
	v_add_co_u32 v24, vcc_lo, v78, v28
	v_add_f64 v[52:53], v[74:75], -v[50:51]
	v_add_f64 v[50:51], v[76:77], -v[26:27]
	v_add_co_ci_u32_e32 v25, vcc_lo, v79, v29, vcc_lo
	v_add_co_u32 v26, vcc_lo, 0x800, v24
	v_fma_f64 v[56:57], v[60:61], 2.0, -v[32:33]
	v_fma_f64 v[60:61], v[58:59], 2.0, -v[36:37]
	;; [unrolled: 1-line block ×3, first 2 shown]
	v_add_co_ci_u32_e32 v27, vcc_lo, 0, v25, vcc_lo
	v_fma_f64 v[54:55], v[68:69], 2.0, -v[30:31]
	v_add_co_u32 v78, vcc_lo, 0x1800, v24
	v_add_co_ci_u32_e32 v79, vcc_lo, 0, v25, vcc_lo
	v_add_co_u32 v80, vcc_lo, 0x2800, v24
	v_fma_f64 v[64:65], v[62:63], 2.0, -v[40:41]
	v_fma_f64 v[62:63], v[70:71], 2.0, -v[38:39]
	v_add_co_ci_u32_e32 v81, vcc_lo, 0, v25, vcc_lo
	v_fma_f64 v[68:69], v[74:75], 2.0, -v[52:53]
	v_fma_f64 v[66:67], v[76:77], 2.0, -v[50:51]
	v_add_co_u32 v28, vcc_lo, 0x3000, v24
	v_add_co_ci_u32_e32 v29, vcc_lo, 0, v25, vcc_lo
	v_add_co_u32 v70, vcc_lo, 0x4000, v24
	v_add_co_ci_u32_e32 v71, vcc_lo, 0, v25, vcc_lo
	;; [unrolled: 2-line block ×4, first 2 shown]
	global_store_dwordx4 v[72:73], v[34:37], off offset:736
	global_store_dwordx4 v[78:79], v[58:61], off offset:928
	;; [unrolled: 1-line block ×5, first 2 shown]
	global_store_dwordx4 v[24:25], v[66:69], off
	global_store_dwordx4 v[26:27], v[62:65], off offset:1488
	global_store_dwordx4 v[74:75], v[30:33], off offset:176
	s_and_b32 exec_lo, exec_lo, s0
	s_cbranch_execz .LBB0_22
; %bb.21:
	v_mov_b32_e32 v30, 0x88
	v_cndmask_b32_e64 v30, 0xffffffab, v30, s0
	v_add_nc_u32_e32 v30, v98, v30
	v_mul_i32_i24_e32 v98, 7, v30
	v_lshlrev_b64 v[30:31], 4, v[98:99]
	v_add_co_u32 v34, vcc_lo, s8, v30
	v_add_co_ci_u32_e32 v35, vcc_lo, s9, v31, vcc_lo
	v_add_co_u32 v54, vcc_lo, 0x800, v34
	v_add_co_ci_u32_e32 v55, vcc_lo, 0, v35, vcc_lo
	;; [unrolled: 2-line block ×4, first 2 shown]
	s_clause 0x6
	global_load_dwordx4 v[30:33], v[54:55], off offset:1216
	global_load_dwordx4 v[34:37], v[58:59], off offset:16
	;; [unrolled: 1-line block ×7, first 2 shown]
	s_waitcnt vmcnt(5)
	v_mul_f64 v[68:69], v[46:47], v[36:37]
	v_mul_f64 v[36:37], v[20:21], v[36:37]
	s_waitcnt vmcnt(4)
	v_mul_f64 v[70:71], v[12:13], v[40:41]
	v_mul_f64 v[40:41], v[4:5], v[40:41]
	;; [unrolled: 1-line block ×4, first 2 shown]
	s_waitcnt vmcnt(3)
	v_mul_f64 v[72:73], v[8:9], v[52:53]
	v_mul_f64 v[52:53], v[0:1], v[52:53]
	s_waitcnt vmcnt(2)
	v_mul_f64 v[74:75], v[14:15], v[56:57]
	v_mul_f64 v[56:57], v[6:7], v[56:57]
	s_waitcnt vmcnt(1)
	v_mul_f64 v[76:77], v[48:49], v[60:61]
	v_mul_f64 v[60:61], v[22:23], v[60:61]
	s_waitcnt vmcnt(0)
	v_mul_f64 v[78:79], v[10:11], v[64:65]
	v_mul_f64 v[64:65], v[2:3], v[64:65]
	v_fma_f64 v[20:21], v[20:21], v[34:35], v[68:69]
	v_fma_f64 v[4:5], v[4:5], v[38:39], v[70:71]
	v_fma_f64 v[12:13], v[12:13], v[38:39], -v[40:41]
	v_fma_f64 v[18:19], v[18:19], v[30:31], v[66:67]
	v_fma_f64 v[30:31], v[44:45], v[30:31], -v[32:33]
	v_fma_f64 v[32:33], v[46:47], v[34:35], -v[36:37]
	v_fma_f64 v[0:1], v[0:1], v[50:51], v[72:73]
	v_fma_f64 v[8:9], v[8:9], v[50:51], -v[52:53]
	v_fma_f64 v[6:7], v[6:7], v[54:55], v[74:75]
	;; [unrolled: 2-line block ×4, first 2 shown]
	v_fma_f64 v[10:11], v[10:11], v[62:63], -v[64:65]
	v_add_f64 v[4:5], v[16:17], -v[4:5]
	v_add_f64 v[12:13], v[42:43], -v[12:13]
	;; [unrolled: 1-line block ×8, first 2 shown]
	v_fma_f64 v[16:17], v[16:17], 2.0, -v[4:5]
	v_fma_f64 v[36:37], v[42:43], 2.0, -v[12:13]
	;; [unrolled: 1-line block ×6, first 2 shown]
	v_add_f64 v[38:39], v[4:5], v[8:9]
	v_add_f64 v[40:41], v[12:13], -v[0:1]
	v_fma_f64 v[0:1], v[22:23], 2.0, -v[2:3]
	v_fma_f64 v[8:9], v[34:35], 2.0, -v[10:11]
	v_add_f64 v[10:11], v[6:7], v[10:11]
	v_add_f64 v[22:23], v[14:15], -v[2:3]
	v_add_f64 v[20:21], v[16:17], -v[20:21]
	;; [unrolled: 1-line block ×3, first 2 shown]
	v_fma_f64 v[34:35], v[4:5], 2.0, -v[38:39]
	v_fma_f64 v[42:43], v[12:13], 2.0, -v[40:41]
	v_add_f64 v[2:3], v[18:19], -v[0:1]
	v_add_f64 v[0:1], v[30:31], -v[8:9]
	v_fma_f64 v[44:45], v[6:7], 2.0, -v[10:11]
	v_fma_f64 v[12:13], v[14:15], 2.0, -v[22:23]
	v_fma_f64 v[4:5], v[10:11], s[4:5], v[38:39]
	v_fma_f64 v[6:7], v[22:23], s[4:5], v[40:41]
	v_fma_f64 v[46:47], v[16:17], 2.0, -v[20:21]
	v_fma_f64 v[36:37], v[36:37], 2.0, -v[32:33]
	v_fma_f64 v[8:9], v[18:19], 2.0, -v[2:3]
	v_fma_f64 v[14:15], v[30:31], 2.0, -v[0:1]
	v_fma_f64 v[16:17], v[44:45], s[6:7], v[34:35]
	v_fma_f64 v[18:19], v[12:13], s[6:7], v[42:43]
	v_add_f64 v[0:1], v[20:21], v[0:1]
	v_add_f64 v[2:3], v[32:33], -v[2:3]
	v_fma_f64 v[4:5], v[22:23], s[4:5], v[4:5]
	v_fma_f64 v[6:7], v[10:11], s[6:7], v[6:7]
	v_add_f64 v[8:9], v[46:47], -v[8:9]
	v_add_f64 v[10:11], v[36:37], -v[14:15]
	v_fma_f64 v[12:13], v[12:13], s[4:5], v[16:17]
	v_fma_f64 v[14:15], v[44:45], s[6:7], v[18:19]
	v_fma_f64 v[16:17], v[20:21], 2.0, -v[0:1]
	v_fma_f64 v[18:19], v[32:33], 2.0, -v[2:3]
	;; [unrolled: 1-line block ×4, first 2 shown]
	v_add_co_u32 v44, vcc_lo, 0x1000, v24
	v_add_co_ci_u32_e32 v45, vcc_lo, 0, v25, vcc_lo
	v_add_co_u32 v48, vcc_lo, 0x2000, v24
	v_add_co_ci_u32_e32 v49, vcc_lo, 0, v25, vcc_lo
	;; [unrolled: 2-line block ×3, first 2 shown]
	v_add_co_u32 v40, vcc_lo, 0x4800, v24
	v_fma_f64 v[30:31], v[46:47], 2.0, -v[8:9]
	v_fma_f64 v[32:33], v[36:37], 2.0, -v[10:11]
	;; [unrolled: 1-line block ×4, first 2 shown]
	v_add_co_ci_u32_e32 v41, vcc_lo, 0, v25, vcc_lo
	v_add_co_u32 v42, vcc_lo, 0x5800, v24
	v_add_co_ci_u32_e32 v43, vcc_lo, 0, v25, vcc_lo
	v_add_co_u32 v24, vcc_lo, 0x6800, v24
	v_add_co_ci_u32_e32 v25, vcc_lo, 0, v25, vcc_lo
	global_store_dwordx4 v[42:43], v[0:3], off offset:864
	global_store_dwordx4 v[48:49], v[16:19], off offset:1056
	;; [unrolled: 1-line block ×8, first 2 shown]
.LBB0_22:
	s_endpgm
	.section	.rodata,"a",@progbits
	.p2align	6, 0x0
	.amdhsa_kernel fft_rtc_back_len1768_factors_17_13_8_wgs_136_tpt_136_halfLds_dp_ip_CI_unitstride_sbrr_dirReg
		.amdhsa_group_segment_fixed_size 0
		.amdhsa_private_segment_fixed_size 0
		.amdhsa_kernarg_size 88
		.amdhsa_user_sgpr_count 6
		.amdhsa_user_sgpr_private_segment_buffer 1
		.amdhsa_user_sgpr_dispatch_ptr 0
		.amdhsa_user_sgpr_queue_ptr 0
		.amdhsa_user_sgpr_kernarg_segment_ptr 1
		.amdhsa_user_sgpr_dispatch_id 0
		.amdhsa_user_sgpr_flat_scratch_init 0
		.amdhsa_user_sgpr_private_segment_size 0
		.amdhsa_wavefront_size32 1
		.amdhsa_uses_dynamic_stack 0
		.amdhsa_system_sgpr_private_segment_wavefront_offset 0
		.amdhsa_system_sgpr_workgroup_id_x 1
		.amdhsa_system_sgpr_workgroup_id_y 0
		.amdhsa_system_sgpr_workgroup_id_z 0
		.amdhsa_system_sgpr_workgroup_info 0
		.amdhsa_system_vgpr_workitem_id 0
		.amdhsa_next_free_vgpr 194
		.amdhsa_next_free_sgpr 56
		.amdhsa_reserve_vcc 1
		.amdhsa_reserve_flat_scratch 0
		.amdhsa_float_round_mode_32 0
		.amdhsa_float_round_mode_16_64 0
		.amdhsa_float_denorm_mode_32 3
		.amdhsa_float_denorm_mode_16_64 3
		.amdhsa_dx10_clamp 1
		.amdhsa_ieee_mode 1
		.amdhsa_fp16_overflow 0
		.amdhsa_workgroup_processor_mode 1
		.amdhsa_memory_ordered 1
		.amdhsa_forward_progress 0
		.amdhsa_shared_vgpr_count 0
		.amdhsa_exception_fp_ieee_invalid_op 0
		.amdhsa_exception_fp_denorm_src 0
		.amdhsa_exception_fp_ieee_div_zero 0
		.amdhsa_exception_fp_ieee_overflow 0
		.amdhsa_exception_fp_ieee_underflow 0
		.amdhsa_exception_fp_ieee_inexact 0
		.amdhsa_exception_int_div_zero 0
	.end_amdhsa_kernel
	.text
.Lfunc_end0:
	.size	fft_rtc_back_len1768_factors_17_13_8_wgs_136_tpt_136_halfLds_dp_ip_CI_unitstride_sbrr_dirReg, .Lfunc_end0-fft_rtc_back_len1768_factors_17_13_8_wgs_136_tpt_136_halfLds_dp_ip_CI_unitstride_sbrr_dirReg
                                        ; -- End function
	.section	.AMDGPU.csdata,"",@progbits
; Kernel info:
; codeLenInByte = 15320
; NumSgprs: 58
; NumVgprs: 194
; ScratchSize: 0
; MemoryBound: 1
; FloatMode: 240
; IeeeMode: 1
; LDSByteSize: 0 bytes/workgroup (compile time only)
; SGPRBlocks: 7
; VGPRBlocks: 24
; NumSGPRsForWavesPerEU: 58
; NumVGPRsForWavesPerEU: 194
; Occupancy: 4
; WaveLimiterHint : 1
; COMPUTE_PGM_RSRC2:SCRATCH_EN: 0
; COMPUTE_PGM_RSRC2:USER_SGPR: 6
; COMPUTE_PGM_RSRC2:TRAP_HANDLER: 0
; COMPUTE_PGM_RSRC2:TGID_X_EN: 1
; COMPUTE_PGM_RSRC2:TGID_Y_EN: 0
; COMPUTE_PGM_RSRC2:TGID_Z_EN: 0
; COMPUTE_PGM_RSRC2:TIDIG_COMP_CNT: 0
	.text
	.p2alignl 6, 3214868480
	.fill 48, 4, 3214868480
	.type	__hip_cuid_f4f99dc6692837ea,@object ; @__hip_cuid_f4f99dc6692837ea
	.section	.bss,"aw",@nobits
	.globl	__hip_cuid_f4f99dc6692837ea
__hip_cuid_f4f99dc6692837ea:
	.byte	0                               ; 0x0
	.size	__hip_cuid_f4f99dc6692837ea, 1

	.ident	"AMD clang version 19.0.0git (https://github.com/RadeonOpenCompute/llvm-project roc-6.4.0 25133 c7fe45cf4b819c5991fe208aaa96edf142730f1d)"
	.section	".note.GNU-stack","",@progbits
	.addrsig
	.addrsig_sym __hip_cuid_f4f99dc6692837ea
	.amdgpu_metadata
---
amdhsa.kernels:
  - .args:
      - .actual_access:  read_only
        .address_space:  global
        .offset:         0
        .size:           8
        .value_kind:     global_buffer
      - .offset:         8
        .size:           8
        .value_kind:     by_value
      - .actual_access:  read_only
        .address_space:  global
        .offset:         16
        .size:           8
        .value_kind:     global_buffer
      - .actual_access:  read_only
        .address_space:  global
        .offset:         24
        .size:           8
        .value_kind:     global_buffer
      - .offset:         32
        .size:           8
        .value_kind:     by_value
      - .actual_access:  read_only
        .address_space:  global
        .offset:         40
        .size:           8
        .value_kind:     global_buffer
      - .actual_access:  read_only
        .address_space:  global
        .offset:         48
        .size:           8
        .value_kind:     global_buffer
      - .offset:         56
        .size:           4
        .value_kind:     by_value
      - .actual_access:  read_only
        .address_space:  global
        .offset:         64
        .size:           8
        .value_kind:     global_buffer
      - .actual_access:  read_only
        .address_space:  global
        .offset:         72
        .size:           8
        .value_kind:     global_buffer
      - .address_space:  global
        .offset:         80
        .size:           8
        .value_kind:     global_buffer
    .group_segment_fixed_size: 0
    .kernarg_segment_align: 8
    .kernarg_segment_size: 88
    .language:       OpenCL C
    .language_version:
      - 2
      - 0
    .max_flat_workgroup_size: 136
    .name:           fft_rtc_back_len1768_factors_17_13_8_wgs_136_tpt_136_halfLds_dp_ip_CI_unitstride_sbrr_dirReg
    .private_segment_fixed_size: 0
    .sgpr_count:     58
    .sgpr_spill_count: 0
    .symbol:         fft_rtc_back_len1768_factors_17_13_8_wgs_136_tpt_136_halfLds_dp_ip_CI_unitstride_sbrr_dirReg.kd
    .uniform_work_group_size: 1
    .uses_dynamic_stack: false
    .vgpr_count:     194
    .vgpr_spill_count: 0
    .wavefront_size: 32
    .workgroup_processor_mode: 1
amdhsa.target:   amdgcn-amd-amdhsa--gfx1030
amdhsa.version:
  - 1
  - 2
...

	.end_amdgpu_metadata
